;; amdgpu-corpus repo=pytorch/pytorch kind=compiled arch=gfx950 opt=O3
	.amdgcn_target "amdgcn-amd-amdhsa--gfx950"
	.amdhsa_code_object_version 6
	.section	.text._ZN7rocprim17ROCPRIM_304000_NS6detail31init_lookback_scan_state_kernelINS1_19lookback_scan_stateIiLb1ELb1EEEEEvT_jjPNS5_10value_typeE,"axG",@progbits,_ZN7rocprim17ROCPRIM_304000_NS6detail31init_lookback_scan_state_kernelINS1_19lookback_scan_stateIiLb1ELb1EEEEEvT_jjPNS5_10value_typeE,comdat
	.protected	_ZN7rocprim17ROCPRIM_304000_NS6detail31init_lookback_scan_state_kernelINS1_19lookback_scan_stateIiLb1ELb1EEEEEvT_jjPNS5_10value_typeE ; -- Begin function _ZN7rocprim17ROCPRIM_304000_NS6detail31init_lookback_scan_state_kernelINS1_19lookback_scan_stateIiLb1ELb1EEEEEvT_jjPNS5_10value_typeE
	.globl	_ZN7rocprim17ROCPRIM_304000_NS6detail31init_lookback_scan_state_kernelINS1_19lookback_scan_stateIiLb1ELb1EEEEEvT_jjPNS5_10value_typeE
	.p2align	8
	.type	_ZN7rocprim17ROCPRIM_304000_NS6detail31init_lookback_scan_state_kernelINS1_19lookback_scan_stateIiLb1ELb1EEEEEvT_jjPNS5_10value_typeE,@function
_ZN7rocprim17ROCPRIM_304000_NS6detail31init_lookback_scan_state_kernelINS1_19lookback_scan_stateIiLb1ELb1EEEEEvT_jjPNS5_10value_typeE: ; @_ZN7rocprim17ROCPRIM_304000_NS6detail31init_lookback_scan_state_kernelINS1_19lookback_scan_stateIiLb1ELb1EEEEEvT_jjPNS5_10value_typeE
; %bb.0:
	s_load_dword s3, s[0:1], 0x24
	s_load_dwordx2 s[8:9], s[0:1], 0x10
	s_load_dwordx4 s[4:7], s[0:1], 0x0
	s_waitcnt lgkmcnt(0)
	s_and_b32 s0, s3, 0xffff
	s_mul_i32 s2, s2, s0
	s_cmp_eq_u64 s[8:9], 0
	v_add_u32_e32 v0, s2, v0
	s_cbranch_scc1 .LBB0_9
; %bb.1:
	s_cmp_lt_u32 s7, s6
	s_cselect_b32 s0, s7, 0
	s_mov_b32 s3, 0
	v_cmp_eq_u32_e32 vcc, s0, v0
	s_and_saveexec_b64 s[0:1], vcc
	s_cbranch_execz .LBB0_8
; %bb.2:
	s_add_i32 s2, s7, 64
	s_lshl_b64 s[2:3], s[2:3], 3
	s_add_u32 s2, s4, s2
	s_addc_u32 s3, s5, s3
	v_mov_b32_e32 v2, 0
	global_load_dwordx2 v[4:5], v2, s[2:3] sc1
	s_waitcnt vmcnt(0)
	v_and_b32_e32 v3, 0xff, v5
	v_cmp_ne_u64_e32 vcc, 0, v[2:3]
	s_cbranch_vccnz .LBB0_7
; %bb.3:
	s_mov_b32 s7, 1
.LBB0_4:                                ; =>This Loop Header: Depth=1
                                        ;     Child Loop BB0_5 Depth 2
	s_mov_b32 s10, s7
.LBB0_5:                                ;   Parent Loop BB0_4 Depth=1
                                        ; =>  This Inner Loop Header: Depth=2
	s_add_i32 s10, s10, -1
	s_cmp_eq_u32 s10, 0
	s_sleep 1
	s_cbranch_scc0 .LBB0_5
; %bb.6:                                ;   in Loop: Header=BB0_4 Depth=1
	global_load_dwordx2 v[4:5], v2, s[2:3] sc1
	s_cmp_lt_u32 s7, 32
	s_cselect_b64 s[10:11], -1, 0
	s_cmp_lg_u64 s[10:11], 0
	s_addc_u32 s7, s7, 0
	s_waitcnt vmcnt(0)
	v_and_b32_e32 v3, 0xff, v5
	v_cmp_ne_u64_e32 vcc, 0, v[2:3]
	s_cbranch_vccz .LBB0_4
.LBB0_7:
	v_mov_b32_e32 v1, 0
	global_store_dword v1, v4, s[8:9]
.LBB0_8:
	s_or_b64 exec, exec, s[0:1]
.LBB0_9:
	v_cmp_gt_u32_e32 vcc, s6, v0
	s_and_saveexec_b64 s[0:1], vcc
	s_cbranch_execnz .LBB0_12
; %bb.10:
	s_or_b64 exec, exec, s[0:1]
	v_cmp_gt_u32_e32 vcc, 64, v0
	s_and_saveexec_b64 s[0:1], vcc
	s_cbranch_execnz .LBB0_13
.LBB0_11:
	s_endpgm
.LBB0_12:
	v_add_u32_e32 v2, 64, v0
	v_mov_b32_e32 v3, 0
	v_lshl_add_u64 v[4:5], v[2:3], 3, s[4:5]
	v_mov_b32_e32 v2, v3
	global_store_dwordx2 v[4:5], v[2:3], off
	s_or_b64 exec, exec, s[0:1]
	v_cmp_gt_u32_e32 vcc, 64, v0
	s_and_saveexec_b64 s[0:1], vcc
	s_cbranch_execz .LBB0_11
.LBB0_13:
	v_mov_b32_e32 v1, 0
	v_lshl_add_u64 v[2:3], v[0:1], 3, s[4:5]
	v_mov_b32_e32 v5, 0xff
	v_mov_b32_e32 v4, v1
	global_store_dwordx2 v[2:3], v[4:5], off
	s_endpgm
	.section	.rodata,"a",@progbits
	.p2align	6, 0x0
	.amdhsa_kernel _ZN7rocprim17ROCPRIM_304000_NS6detail31init_lookback_scan_state_kernelINS1_19lookback_scan_stateIiLb1ELb1EEEEEvT_jjPNS5_10value_typeE
		.amdhsa_group_segment_fixed_size 0
		.amdhsa_private_segment_fixed_size 0
		.amdhsa_kernarg_size 280
		.amdhsa_user_sgpr_count 2
		.amdhsa_user_sgpr_dispatch_ptr 0
		.amdhsa_user_sgpr_queue_ptr 0
		.amdhsa_user_sgpr_kernarg_segment_ptr 1
		.amdhsa_user_sgpr_dispatch_id 0
		.amdhsa_user_sgpr_kernarg_preload_length 0
		.amdhsa_user_sgpr_kernarg_preload_offset 0
		.amdhsa_user_sgpr_private_segment_size 0
		.amdhsa_uses_dynamic_stack 0
		.amdhsa_enable_private_segment 0
		.amdhsa_system_sgpr_workgroup_id_x 1
		.amdhsa_system_sgpr_workgroup_id_y 0
		.amdhsa_system_sgpr_workgroup_id_z 0
		.amdhsa_system_sgpr_workgroup_info 0
		.amdhsa_system_vgpr_workitem_id 0
		.amdhsa_next_free_vgpr 6
		.amdhsa_next_free_sgpr 12
		.amdhsa_accum_offset 8
		.amdhsa_reserve_vcc 1
		.amdhsa_float_round_mode_32 0
		.amdhsa_float_round_mode_16_64 0
		.amdhsa_float_denorm_mode_32 3
		.amdhsa_float_denorm_mode_16_64 3
		.amdhsa_dx10_clamp 1
		.amdhsa_ieee_mode 1
		.amdhsa_fp16_overflow 0
		.amdhsa_tg_split 0
		.amdhsa_exception_fp_ieee_invalid_op 0
		.amdhsa_exception_fp_denorm_src 0
		.amdhsa_exception_fp_ieee_div_zero 0
		.amdhsa_exception_fp_ieee_overflow 0
		.amdhsa_exception_fp_ieee_underflow 0
		.amdhsa_exception_fp_ieee_inexact 0
		.amdhsa_exception_int_div_zero 0
	.end_amdhsa_kernel
	.section	.text._ZN7rocprim17ROCPRIM_304000_NS6detail31init_lookback_scan_state_kernelINS1_19lookback_scan_stateIiLb1ELb1EEEEEvT_jjPNS5_10value_typeE,"axG",@progbits,_ZN7rocprim17ROCPRIM_304000_NS6detail31init_lookback_scan_state_kernelINS1_19lookback_scan_stateIiLb1ELb1EEEEEvT_jjPNS5_10value_typeE,comdat
.Lfunc_end0:
	.size	_ZN7rocprim17ROCPRIM_304000_NS6detail31init_lookback_scan_state_kernelINS1_19lookback_scan_stateIiLb1ELb1EEEEEvT_jjPNS5_10value_typeE, .Lfunc_end0-_ZN7rocprim17ROCPRIM_304000_NS6detail31init_lookback_scan_state_kernelINS1_19lookback_scan_stateIiLb1ELb1EEEEEvT_jjPNS5_10value_typeE
                                        ; -- End function
	.set _ZN7rocprim17ROCPRIM_304000_NS6detail31init_lookback_scan_state_kernelINS1_19lookback_scan_stateIiLb1ELb1EEEEEvT_jjPNS5_10value_typeE.num_vgpr, 6
	.set _ZN7rocprim17ROCPRIM_304000_NS6detail31init_lookback_scan_state_kernelINS1_19lookback_scan_stateIiLb1ELb1EEEEEvT_jjPNS5_10value_typeE.num_agpr, 0
	.set _ZN7rocprim17ROCPRIM_304000_NS6detail31init_lookback_scan_state_kernelINS1_19lookback_scan_stateIiLb1ELb1EEEEEvT_jjPNS5_10value_typeE.numbered_sgpr, 12
	.set _ZN7rocprim17ROCPRIM_304000_NS6detail31init_lookback_scan_state_kernelINS1_19lookback_scan_stateIiLb1ELb1EEEEEvT_jjPNS5_10value_typeE.num_named_barrier, 0
	.set _ZN7rocprim17ROCPRIM_304000_NS6detail31init_lookback_scan_state_kernelINS1_19lookback_scan_stateIiLb1ELb1EEEEEvT_jjPNS5_10value_typeE.private_seg_size, 0
	.set _ZN7rocprim17ROCPRIM_304000_NS6detail31init_lookback_scan_state_kernelINS1_19lookback_scan_stateIiLb1ELb1EEEEEvT_jjPNS5_10value_typeE.uses_vcc, 1
	.set _ZN7rocprim17ROCPRIM_304000_NS6detail31init_lookback_scan_state_kernelINS1_19lookback_scan_stateIiLb1ELb1EEEEEvT_jjPNS5_10value_typeE.uses_flat_scratch, 0
	.set _ZN7rocprim17ROCPRIM_304000_NS6detail31init_lookback_scan_state_kernelINS1_19lookback_scan_stateIiLb1ELb1EEEEEvT_jjPNS5_10value_typeE.has_dyn_sized_stack, 0
	.set _ZN7rocprim17ROCPRIM_304000_NS6detail31init_lookback_scan_state_kernelINS1_19lookback_scan_stateIiLb1ELb1EEEEEvT_jjPNS5_10value_typeE.has_recursion, 0
	.set _ZN7rocprim17ROCPRIM_304000_NS6detail31init_lookback_scan_state_kernelINS1_19lookback_scan_stateIiLb1ELb1EEEEEvT_jjPNS5_10value_typeE.has_indirect_call, 0
	.section	.AMDGPU.csdata,"",@progbits
; Kernel info:
; codeLenInByte = 320
; TotalNumSgprs: 18
; NumVgprs: 6
; NumAgprs: 0
; TotalNumVgprs: 6
; ScratchSize: 0
; MemoryBound: 0
; FloatMode: 240
; IeeeMode: 1
; LDSByteSize: 0 bytes/workgroup (compile time only)
; SGPRBlocks: 2
; VGPRBlocks: 0
; NumSGPRsForWavesPerEU: 18
; NumVGPRsForWavesPerEU: 6
; AccumOffset: 8
; Occupancy: 8
; WaveLimiterHint : 0
; COMPUTE_PGM_RSRC2:SCRATCH_EN: 0
; COMPUTE_PGM_RSRC2:USER_SGPR: 2
; COMPUTE_PGM_RSRC2:TRAP_HANDLER: 0
; COMPUTE_PGM_RSRC2:TGID_X_EN: 1
; COMPUTE_PGM_RSRC2:TGID_Y_EN: 0
; COMPUTE_PGM_RSRC2:TGID_Z_EN: 0
; COMPUTE_PGM_RSRC2:TIDIG_COMP_CNT: 0
; COMPUTE_PGM_RSRC3_GFX90A:ACCUM_OFFSET: 1
; COMPUTE_PGM_RSRC3_GFX90A:TG_SPLIT: 0
	.section	.text._ZN7rocprim17ROCPRIM_304000_NS6detail31init_lookback_scan_state_kernelINS1_19lookback_scan_stateIiLb0ELb1EEEEEvT_jjPNS5_10value_typeE,"axG",@progbits,_ZN7rocprim17ROCPRIM_304000_NS6detail31init_lookback_scan_state_kernelINS1_19lookback_scan_stateIiLb0ELb1EEEEEvT_jjPNS5_10value_typeE,comdat
	.protected	_ZN7rocprim17ROCPRIM_304000_NS6detail31init_lookback_scan_state_kernelINS1_19lookback_scan_stateIiLb0ELb1EEEEEvT_jjPNS5_10value_typeE ; -- Begin function _ZN7rocprim17ROCPRIM_304000_NS6detail31init_lookback_scan_state_kernelINS1_19lookback_scan_stateIiLb0ELb1EEEEEvT_jjPNS5_10value_typeE
	.globl	_ZN7rocprim17ROCPRIM_304000_NS6detail31init_lookback_scan_state_kernelINS1_19lookback_scan_stateIiLb0ELb1EEEEEvT_jjPNS5_10value_typeE
	.p2align	8
	.type	_ZN7rocprim17ROCPRIM_304000_NS6detail31init_lookback_scan_state_kernelINS1_19lookback_scan_stateIiLb0ELb1EEEEEvT_jjPNS5_10value_typeE,@function
_ZN7rocprim17ROCPRIM_304000_NS6detail31init_lookback_scan_state_kernelINS1_19lookback_scan_stateIiLb0ELb1EEEEEvT_jjPNS5_10value_typeE: ; @_ZN7rocprim17ROCPRIM_304000_NS6detail31init_lookback_scan_state_kernelINS1_19lookback_scan_stateIiLb0ELb1EEEEEvT_jjPNS5_10value_typeE
; %bb.0:
	s_load_dword s3, s[0:1], 0x24
	s_load_dwordx2 s[8:9], s[0:1], 0x10
	s_load_dwordx4 s[4:7], s[0:1], 0x0
	s_waitcnt lgkmcnt(0)
	s_and_b32 s0, s3, 0xffff
	s_mul_i32 s2, s2, s0
	s_cmp_eq_u64 s[8:9], 0
	v_add_u32_e32 v0, s2, v0
	s_cbranch_scc1 .LBB1_6
; %bb.1:
	s_cmp_lt_u32 s7, s6
	s_cselect_b32 s0, s7, 0
	s_mov_b32 s3, 0
	v_cmp_eq_u32_e32 vcc, s0, v0
	s_and_saveexec_b64 s[0:1], vcc
	s_cbranch_execz .LBB1_5
; %bb.2:
	s_add_i32 s2, s7, 64
	s_lshl_b64 s[2:3], s[2:3], 3
	s_add_u32 s2, s4, s2
	s_addc_u32 s3, s5, s3
	v_mov_b32_e32 v4, 0
	global_load_dwordx2 v[2:3], v4, s[2:3] sc1
	s_waitcnt vmcnt(0)
	v_and_b32_e32 v5, 0xff, v3
	v_cmp_ne_u64_e32 vcc, 0, v[4:5]
	s_cbranch_vccnz .LBB1_4
.LBB1_3:                                ; =>This Inner Loop Header: Depth=1
	global_load_dwordx2 v[2:3], v4, s[2:3] sc1
	s_waitcnt vmcnt(0)
	v_and_b32_e32 v5, 0xff, v3
	v_cmp_eq_u64_e32 vcc, 0, v[4:5]
	s_cbranch_vccnz .LBB1_3
.LBB1_4:
	v_mov_b32_e32 v1, 0
	global_store_dword v1, v2, s[8:9]
.LBB1_5:
	s_or_b64 exec, exec, s[0:1]
.LBB1_6:
	v_cmp_gt_u32_e32 vcc, s6, v0
	s_and_saveexec_b64 s[0:1], vcc
	s_cbranch_execnz .LBB1_9
; %bb.7:
	s_or_b64 exec, exec, s[0:1]
	v_cmp_gt_u32_e32 vcc, 64, v0
	s_and_saveexec_b64 s[0:1], vcc
	s_cbranch_execnz .LBB1_10
.LBB1_8:
	s_endpgm
.LBB1_9:
	v_add_u32_e32 v2, 64, v0
	v_mov_b32_e32 v3, 0
	v_lshl_add_u64 v[4:5], v[2:3], 3, s[4:5]
	v_mov_b32_e32 v2, v3
	global_store_dwordx2 v[4:5], v[2:3], off
	s_or_b64 exec, exec, s[0:1]
	v_cmp_gt_u32_e32 vcc, 64, v0
	s_and_saveexec_b64 s[0:1], vcc
	s_cbranch_execz .LBB1_8
.LBB1_10:
	v_mov_b32_e32 v1, 0
	v_lshl_add_u64 v[2:3], v[0:1], 3, s[4:5]
	v_mov_b32_e32 v5, 0xff
	v_mov_b32_e32 v4, v1
	global_store_dwordx2 v[2:3], v[4:5], off
	s_endpgm
	.section	.rodata,"a",@progbits
	.p2align	6, 0x0
	.amdhsa_kernel _ZN7rocprim17ROCPRIM_304000_NS6detail31init_lookback_scan_state_kernelINS1_19lookback_scan_stateIiLb0ELb1EEEEEvT_jjPNS5_10value_typeE
		.amdhsa_group_segment_fixed_size 0
		.amdhsa_private_segment_fixed_size 0
		.amdhsa_kernarg_size 280
		.amdhsa_user_sgpr_count 2
		.amdhsa_user_sgpr_dispatch_ptr 0
		.amdhsa_user_sgpr_queue_ptr 0
		.amdhsa_user_sgpr_kernarg_segment_ptr 1
		.amdhsa_user_sgpr_dispatch_id 0
		.amdhsa_user_sgpr_kernarg_preload_length 0
		.amdhsa_user_sgpr_kernarg_preload_offset 0
		.amdhsa_user_sgpr_private_segment_size 0
		.amdhsa_uses_dynamic_stack 0
		.amdhsa_enable_private_segment 0
		.amdhsa_system_sgpr_workgroup_id_x 1
		.amdhsa_system_sgpr_workgroup_id_y 0
		.amdhsa_system_sgpr_workgroup_id_z 0
		.amdhsa_system_sgpr_workgroup_info 0
		.amdhsa_system_vgpr_workitem_id 0
		.amdhsa_next_free_vgpr 6
		.amdhsa_next_free_sgpr 10
		.amdhsa_accum_offset 8
		.amdhsa_reserve_vcc 1
		.amdhsa_float_round_mode_32 0
		.amdhsa_float_round_mode_16_64 0
		.amdhsa_float_denorm_mode_32 3
		.amdhsa_float_denorm_mode_16_64 3
		.amdhsa_dx10_clamp 1
		.amdhsa_ieee_mode 1
		.amdhsa_fp16_overflow 0
		.amdhsa_tg_split 0
		.amdhsa_exception_fp_ieee_invalid_op 0
		.amdhsa_exception_fp_denorm_src 0
		.amdhsa_exception_fp_ieee_div_zero 0
		.amdhsa_exception_fp_ieee_overflow 0
		.amdhsa_exception_fp_ieee_underflow 0
		.amdhsa_exception_fp_ieee_inexact 0
		.amdhsa_exception_int_div_zero 0
	.end_amdhsa_kernel
	.section	.text._ZN7rocprim17ROCPRIM_304000_NS6detail31init_lookback_scan_state_kernelINS1_19lookback_scan_stateIiLb0ELb1EEEEEvT_jjPNS5_10value_typeE,"axG",@progbits,_ZN7rocprim17ROCPRIM_304000_NS6detail31init_lookback_scan_state_kernelINS1_19lookback_scan_stateIiLb0ELb1EEEEEvT_jjPNS5_10value_typeE,comdat
.Lfunc_end1:
	.size	_ZN7rocprim17ROCPRIM_304000_NS6detail31init_lookback_scan_state_kernelINS1_19lookback_scan_stateIiLb0ELb1EEEEEvT_jjPNS5_10value_typeE, .Lfunc_end1-_ZN7rocprim17ROCPRIM_304000_NS6detail31init_lookback_scan_state_kernelINS1_19lookback_scan_stateIiLb0ELb1EEEEEvT_jjPNS5_10value_typeE
                                        ; -- End function
	.set _ZN7rocprim17ROCPRIM_304000_NS6detail31init_lookback_scan_state_kernelINS1_19lookback_scan_stateIiLb0ELb1EEEEEvT_jjPNS5_10value_typeE.num_vgpr, 6
	.set _ZN7rocprim17ROCPRIM_304000_NS6detail31init_lookback_scan_state_kernelINS1_19lookback_scan_stateIiLb0ELb1EEEEEvT_jjPNS5_10value_typeE.num_agpr, 0
	.set _ZN7rocprim17ROCPRIM_304000_NS6detail31init_lookback_scan_state_kernelINS1_19lookback_scan_stateIiLb0ELb1EEEEEvT_jjPNS5_10value_typeE.numbered_sgpr, 10
	.set _ZN7rocprim17ROCPRIM_304000_NS6detail31init_lookback_scan_state_kernelINS1_19lookback_scan_stateIiLb0ELb1EEEEEvT_jjPNS5_10value_typeE.num_named_barrier, 0
	.set _ZN7rocprim17ROCPRIM_304000_NS6detail31init_lookback_scan_state_kernelINS1_19lookback_scan_stateIiLb0ELb1EEEEEvT_jjPNS5_10value_typeE.private_seg_size, 0
	.set _ZN7rocprim17ROCPRIM_304000_NS6detail31init_lookback_scan_state_kernelINS1_19lookback_scan_stateIiLb0ELb1EEEEEvT_jjPNS5_10value_typeE.uses_vcc, 1
	.set _ZN7rocprim17ROCPRIM_304000_NS6detail31init_lookback_scan_state_kernelINS1_19lookback_scan_stateIiLb0ELb1EEEEEvT_jjPNS5_10value_typeE.uses_flat_scratch, 0
	.set _ZN7rocprim17ROCPRIM_304000_NS6detail31init_lookback_scan_state_kernelINS1_19lookback_scan_stateIiLb0ELb1EEEEEvT_jjPNS5_10value_typeE.has_dyn_sized_stack, 0
	.set _ZN7rocprim17ROCPRIM_304000_NS6detail31init_lookback_scan_state_kernelINS1_19lookback_scan_stateIiLb0ELb1EEEEEvT_jjPNS5_10value_typeE.has_recursion, 0
	.set _ZN7rocprim17ROCPRIM_304000_NS6detail31init_lookback_scan_state_kernelINS1_19lookback_scan_stateIiLb0ELb1EEEEEvT_jjPNS5_10value_typeE.has_indirect_call, 0
	.section	.AMDGPU.csdata,"",@progbits
; Kernel info:
; codeLenInByte = 280
; TotalNumSgprs: 16
; NumVgprs: 6
; NumAgprs: 0
; TotalNumVgprs: 6
; ScratchSize: 0
; MemoryBound: 0
; FloatMode: 240
; IeeeMode: 1
; LDSByteSize: 0 bytes/workgroup (compile time only)
; SGPRBlocks: 1
; VGPRBlocks: 0
; NumSGPRsForWavesPerEU: 16
; NumVGPRsForWavesPerEU: 6
; AccumOffset: 8
; Occupancy: 8
; WaveLimiterHint : 0
; COMPUTE_PGM_RSRC2:SCRATCH_EN: 0
; COMPUTE_PGM_RSRC2:USER_SGPR: 2
; COMPUTE_PGM_RSRC2:TRAP_HANDLER: 0
; COMPUTE_PGM_RSRC2:TGID_X_EN: 1
; COMPUTE_PGM_RSRC2:TGID_Y_EN: 0
; COMPUTE_PGM_RSRC2:TGID_Z_EN: 0
; COMPUTE_PGM_RSRC2:TIDIG_COMP_CNT: 0
; COMPUTE_PGM_RSRC3_GFX90A:ACCUM_OFFSET: 1
; COMPUTE_PGM_RSRC3_GFX90A:TG_SPLIT: 0
	.section	.text._ZN7rocprim17ROCPRIM_304000_NS6detail20lookback_scan_kernelILNS1_25lookback_scan_determinismE0ELb0ENS1_19wrapped_scan_configINS0_14default_configEiEEPKiPiSt4plusIvEiiNS1_19lookback_scan_stateIiLb1ELb1EEEEEvT2_T3_mT5_T4_T7_jPT6_SK_bb,"axG",@progbits,_ZN7rocprim17ROCPRIM_304000_NS6detail20lookback_scan_kernelILNS1_25lookback_scan_determinismE0ELb0ENS1_19wrapped_scan_configINS0_14default_configEiEEPKiPiSt4plusIvEiiNS1_19lookback_scan_stateIiLb1ELb1EEEEEvT2_T3_mT5_T4_T7_jPT6_SK_bb,comdat
	.protected	_ZN7rocprim17ROCPRIM_304000_NS6detail20lookback_scan_kernelILNS1_25lookback_scan_determinismE0ELb0ENS1_19wrapped_scan_configINS0_14default_configEiEEPKiPiSt4plusIvEiiNS1_19lookback_scan_stateIiLb1ELb1EEEEEvT2_T3_mT5_T4_T7_jPT6_SK_bb ; -- Begin function _ZN7rocprim17ROCPRIM_304000_NS6detail20lookback_scan_kernelILNS1_25lookback_scan_determinismE0ELb0ENS1_19wrapped_scan_configINS0_14default_configEiEEPKiPiSt4plusIvEiiNS1_19lookback_scan_stateIiLb1ELb1EEEEEvT2_T3_mT5_T4_T7_jPT6_SK_bb
	.globl	_ZN7rocprim17ROCPRIM_304000_NS6detail20lookback_scan_kernelILNS1_25lookback_scan_determinismE0ELb0ENS1_19wrapped_scan_configINS0_14default_configEiEEPKiPiSt4plusIvEiiNS1_19lookback_scan_stateIiLb1ELb1EEEEEvT2_T3_mT5_T4_T7_jPT6_SK_bb
	.p2align	8
	.type	_ZN7rocprim17ROCPRIM_304000_NS6detail20lookback_scan_kernelILNS1_25lookback_scan_determinismE0ELb0ENS1_19wrapped_scan_configINS0_14default_configEiEEPKiPiSt4plusIvEiiNS1_19lookback_scan_stateIiLb1ELb1EEEEEvT2_T3_mT5_T4_T7_jPT6_SK_bb,@function
_ZN7rocprim17ROCPRIM_304000_NS6detail20lookback_scan_kernelILNS1_25lookback_scan_determinismE0ELb0ENS1_19wrapped_scan_configINS0_14default_configEiEEPKiPiSt4plusIvEiiNS1_19lookback_scan_stateIiLb1ELb1EEEEEvT2_T3_mT5_T4_T7_jPT6_SK_bb: ; @_ZN7rocprim17ROCPRIM_304000_NS6detail20lookback_scan_kernelILNS1_25lookback_scan_determinismE0ELb0ENS1_19wrapped_scan_configINS0_14default_configEiEEPKiPiSt4plusIvEiiNS1_19lookback_scan_stateIiLb1ELb1EEEEEvT2_T3_mT5_T4_T7_jPT6_SK_bb
; %bb.0:
	s_endpgm
	.section	.rodata,"a",@progbits
	.p2align	6, 0x0
	.amdhsa_kernel _ZN7rocprim17ROCPRIM_304000_NS6detail20lookback_scan_kernelILNS1_25lookback_scan_determinismE0ELb0ENS1_19wrapped_scan_configINS0_14default_configEiEEPKiPiSt4plusIvEiiNS1_19lookback_scan_stateIiLb1ELb1EEEEEvT2_T3_mT5_T4_T7_jPT6_SK_bb
		.amdhsa_group_segment_fixed_size 0
		.amdhsa_private_segment_fixed_size 0
		.amdhsa_kernarg_size 68
		.amdhsa_user_sgpr_count 2
		.amdhsa_user_sgpr_dispatch_ptr 0
		.amdhsa_user_sgpr_queue_ptr 0
		.amdhsa_user_sgpr_kernarg_segment_ptr 1
		.amdhsa_user_sgpr_dispatch_id 0
		.amdhsa_user_sgpr_kernarg_preload_length 0
		.amdhsa_user_sgpr_kernarg_preload_offset 0
		.amdhsa_user_sgpr_private_segment_size 0
		.amdhsa_uses_dynamic_stack 0
		.amdhsa_enable_private_segment 0
		.amdhsa_system_sgpr_workgroup_id_x 1
		.amdhsa_system_sgpr_workgroup_id_y 0
		.amdhsa_system_sgpr_workgroup_id_z 0
		.amdhsa_system_sgpr_workgroup_info 0
		.amdhsa_system_vgpr_workitem_id 0
		.amdhsa_next_free_vgpr 1
		.amdhsa_next_free_sgpr 0
		.amdhsa_accum_offset 4
		.amdhsa_reserve_vcc 0
		.amdhsa_float_round_mode_32 0
		.amdhsa_float_round_mode_16_64 0
		.amdhsa_float_denorm_mode_32 3
		.amdhsa_float_denorm_mode_16_64 3
		.amdhsa_dx10_clamp 1
		.amdhsa_ieee_mode 1
		.amdhsa_fp16_overflow 0
		.amdhsa_tg_split 0
		.amdhsa_exception_fp_ieee_invalid_op 0
		.amdhsa_exception_fp_denorm_src 0
		.amdhsa_exception_fp_ieee_div_zero 0
		.amdhsa_exception_fp_ieee_overflow 0
		.amdhsa_exception_fp_ieee_underflow 0
		.amdhsa_exception_fp_ieee_inexact 0
		.amdhsa_exception_int_div_zero 0
	.end_amdhsa_kernel
	.section	.text._ZN7rocprim17ROCPRIM_304000_NS6detail20lookback_scan_kernelILNS1_25lookback_scan_determinismE0ELb0ENS1_19wrapped_scan_configINS0_14default_configEiEEPKiPiSt4plusIvEiiNS1_19lookback_scan_stateIiLb1ELb1EEEEEvT2_T3_mT5_T4_T7_jPT6_SK_bb,"axG",@progbits,_ZN7rocprim17ROCPRIM_304000_NS6detail20lookback_scan_kernelILNS1_25lookback_scan_determinismE0ELb0ENS1_19wrapped_scan_configINS0_14default_configEiEEPKiPiSt4plusIvEiiNS1_19lookback_scan_stateIiLb1ELb1EEEEEvT2_T3_mT5_T4_T7_jPT6_SK_bb,comdat
.Lfunc_end2:
	.size	_ZN7rocprim17ROCPRIM_304000_NS6detail20lookback_scan_kernelILNS1_25lookback_scan_determinismE0ELb0ENS1_19wrapped_scan_configINS0_14default_configEiEEPKiPiSt4plusIvEiiNS1_19lookback_scan_stateIiLb1ELb1EEEEEvT2_T3_mT5_T4_T7_jPT6_SK_bb, .Lfunc_end2-_ZN7rocprim17ROCPRIM_304000_NS6detail20lookback_scan_kernelILNS1_25lookback_scan_determinismE0ELb0ENS1_19wrapped_scan_configINS0_14default_configEiEEPKiPiSt4plusIvEiiNS1_19lookback_scan_stateIiLb1ELb1EEEEEvT2_T3_mT5_T4_T7_jPT6_SK_bb
                                        ; -- End function
	.set _ZN7rocprim17ROCPRIM_304000_NS6detail20lookback_scan_kernelILNS1_25lookback_scan_determinismE0ELb0ENS1_19wrapped_scan_configINS0_14default_configEiEEPKiPiSt4plusIvEiiNS1_19lookback_scan_stateIiLb1ELb1EEEEEvT2_T3_mT5_T4_T7_jPT6_SK_bb.num_vgpr, 0
	.set _ZN7rocprim17ROCPRIM_304000_NS6detail20lookback_scan_kernelILNS1_25lookback_scan_determinismE0ELb0ENS1_19wrapped_scan_configINS0_14default_configEiEEPKiPiSt4plusIvEiiNS1_19lookback_scan_stateIiLb1ELb1EEEEEvT2_T3_mT5_T4_T7_jPT6_SK_bb.num_agpr, 0
	.set _ZN7rocprim17ROCPRIM_304000_NS6detail20lookback_scan_kernelILNS1_25lookback_scan_determinismE0ELb0ENS1_19wrapped_scan_configINS0_14default_configEiEEPKiPiSt4plusIvEiiNS1_19lookback_scan_stateIiLb1ELb1EEEEEvT2_T3_mT5_T4_T7_jPT6_SK_bb.numbered_sgpr, 0
	.set _ZN7rocprim17ROCPRIM_304000_NS6detail20lookback_scan_kernelILNS1_25lookback_scan_determinismE0ELb0ENS1_19wrapped_scan_configINS0_14default_configEiEEPKiPiSt4plusIvEiiNS1_19lookback_scan_stateIiLb1ELb1EEEEEvT2_T3_mT5_T4_T7_jPT6_SK_bb.num_named_barrier, 0
	.set _ZN7rocprim17ROCPRIM_304000_NS6detail20lookback_scan_kernelILNS1_25lookback_scan_determinismE0ELb0ENS1_19wrapped_scan_configINS0_14default_configEiEEPKiPiSt4plusIvEiiNS1_19lookback_scan_stateIiLb1ELb1EEEEEvT2_T3_mT5_T4_T7_jPT6_SK_bb.private_seg_size, 0
	.set _ZN7rocprim17ROCPRIM_304000_NS6detail20lookback_scan_kernelILNS1_25lookback_scan_determinismE0ELb0ENS1_19wrapped_scan_configINS0_14default_configEiEEPKiPiSt4plusIvEiiNS1_19lookback_scan_stateIiLb1ELb1EEEEEvT2_T3_mT5_T4_T7_jPT6_SK_bb.uses_vcc, 0
	.set _ZN7rocprim17ROCPRIM_304000_NS6detail20lookback_scan_kernelILNS1_25lookback_scan_determinismE0ELb0ENS1_19wrapped_scan_configINS0_14default_configEiEEPKiPiSt4plusIvEiiNS1_19lookback_scan_stateIiLb1ELb1EEEEEvT2_T3_mT5_T4_T7_jPT6_SK_bb.uses_flat_scratch, 0
	.set _ZN7rocprim17ROCPRIM_304000_NS6detail20lookback_scan_kernelILNS1_25lookback_scan_determinismE0ELb0ENS1_19wrapped_scan_configINS0_14default_configEiEEPKiPiSt4plusIvEiiNS1_19lookback_scan_stateIiLb1ELb1EEEEEvT2_T3_mT5_T4_T7_jPT6_SK_bb.has_dyn_sized_stack, 0
	.set _ZN7rocprim17ROCPRIM_304000_NS6detail20lookback_scan_kernelILNS1_25lookback_scan_determinismE0ELb0ENS1_19wrapped_scan_configINS0_14default_configEiEEPKiPiSt4plusIvEiiNS1_19lookback_scan_stateIiLb1ELb1EEEEEvT2_T3_mT5_T4_T7_jPT6_SK_bb.has_recursion, 0
	.set _ZN7rocprim17ROCPRIM_304000_NS6detail20lookback_scan_kernelILNS1_25lookback_scan_determinismE0ELb0ENS1_19wrapped_scan_configINS0_14default_configEiEEPKiPiSt4plusIvEiiNS1_19lookback_scan_stateIiLb1ELb1EEEEEvT2_T3_mT5_T4_T7_jPT6_SK_bb.has_indirect_call, 0
	.section	.AMDGPU.csdata,"",@progbits
; Kernel info:
; codeLenInByte = 4
; TotalNumSgprs: 6
; NumVgprs: 0
; NumAgprs: 0
; TotalNumVgprs: 0
; ScratchSize: 0
; MemoryBound: 0
; FloatMode: 240
; IeeeMode: 1
; LDSByteSize: 0 bytes/workgroup (compile time only)
; SGPRBlocks: 0
; VGPRBlocks: 0
; NumSGPRsForWavesPerEU: 6
; NumVGPRsForWavesPerEU: 1
; AccumOffset: 4
; Occupancy: 8
; WaveLimiterHint : 0
; COMPUTE_PGM_RSRC2:SCRATCH_EN: 0
; COMPUTE_PGM_RSRC2:USER_SGPR: 2
; COMPUTE_PGM_RSRC2:TRAP_HANDLER: 0
; COMPUTE_PGM_RSRC2:TGID_X_EN: 1
; COMPUTE_PGM_RSRC2:TGID_Y_EN: 0
; COMPUTE_PGM_RSRC2:TGID_Z_EN: 0
; COMPUTE_PGM_RSRC2:TIDIG_COMP_CNT: 0
; COMPUTE_PGM_RSRC3_GFX90A:ACCUM_OFFSET: 0
; COMPUTE_PGM_RSRC3_GFX90A:TG_SPLIT: 0
	.section	.text._ZN7rocprim17ROCPRIM_304000_NS6detail20lookback_scan_kernelILNS1_25lookback_scan_determinismE0ELb0ENS1_19wrapped_scan_configINS0_14default_configEiEEPKiPiSt4plusIvEiiNS1_19lookback_scan_stateIiLb0ELb1EEEEEvT2_T3_mT5_T4_T7_jPT6_SK_bb,"axG",@progbits,_ZN7rocprim17ROCPRIM_304000_NS6detail20lookback_scan_kernelILNS1_25lookback_scan_determinismE0ELb0ENS1_19wrapped_scan_configINS0_14default_configEiEEPKiPiSt4plusIvEiiNS1_19lookback_scan_stateIiLb0ELb1EEEEEvT2_T3_mT5_T4_T7_jPT6_SK_bb,comdat
	.protected	_ZN7rocprim17ROCPRIM_304000_NS6detail20lookback_scan_kernelILNS1_25lookback_scan_determinismE0ELb0ENS1_19wrapped_scan_configINS0_14default_configEiEEPKiPiSt4plusIvEiiNS1_19lookback_scan_stateIiLb0ELb1EEEEEvT2_T3_mT5_T4_T7_jPT6_SK_bb ; -- Begin function _ZN7rocprim17ROCPRIM_304000_NS6detail20lookback_scan_kernelILNS1_25lookback_scan_determinismE0ELb0ENS1_19wrapped_scan_configINS0_14default_configEiEEPKiPiSt4plusIvEiiNS1_19lookback_scan_stateIiLb0ELb1EEEEEvT2_T3_mT5_T4_T7_jPT6_SK_bb
	.globl	_ZN7rocprim17ROCPRIM_304000_NS6detail20lookback_scan_kernelILNS1_25lookback_scan_determinismE0ELb0ENS1_19wrapped_scan_configINS0_14default_configEiEEPKiPiSt4plusIvEiiNS1_19lookback_scan_stateIiLb0ELb1EEEEEvT2_T3_mT5_T4_T7_jPT6_SK_bb
	.p2align	8
	.type	_ZN7rocprim17ROCPRIM_304000_NS6detail20lookback_scan_kernelILNS1_25lookback_scan_determinismE0ELb0ENS1_19wrapped_scan_configINS0_14default_configEiEEPKiPiSt4plusIvEiiNS1_19lookback_scan_stateIiLb0ELb1EEEEEvT2_T3_mT5_T4_T7_jPT6_SK_bb,@function
_ZN7rocprim17ROCPRIM_304000_NS6detail20lookback_scan_kernelILNS1_25lookback_scan_determinismE0ELb0ENS1_19wrapped_scan_configINS0_14default_configEiEEPKiPiSt4plusIvEiiNS1_19lookback_scan_stateIiLb0ELb1EEEEEvT2_T3_mT5_T4_T7_jPT6_SK_bb: ; @_ZN7rocprim17ROCPRIM_304000_NS6detail20lookback_scan_kernelILNS1_25lookback_scan_determinismE0ELb0ENS1_19wrapped_scan_configINS0_14default_configEiEEPKiPiSt4plusIvEiiNS1_19lookback_scan_stateIiLb0ELb1EEEEEvT2_T3_mT5_T4_T7_jPT6_SK_bb
; %bb.0:
	s_load_dword s3, s[0:1], 0x28
	s_load_dwordx4 s[20:23], s[0:1], 0x0
	s_load_dwordx2 s[4:5], s[0:1], 0x10
	s_mul_i32 s6, s2, 0xe00
	s_mov_b32 s7, 0
	s_waitcnt lgkmcnt(0)
	s_add_i32 s3, s3, -1
	s_mul_i32 s8, s3, 0xe00
	s_sub_u32 s28, s4, s8
	s_subb_u32 s29, s5, 0
	s_cmp_lg_u32 s2, s3
	s_cselect_b64 s[24:25], -1, 0
	s_lshl_b64 s[26:27], s[6:7], 2
	s_add_u32 s6, s20, s26
	s_addc_u32 s7, s21, s27
	s_mov_b64 s[4:5], -1
	s_and_b64 vcc, exec, s[24:25]
	v_lshlrev_b32_e32 v30, 2, v0
	s_cbranch_vccz .LBB3_2
; %bb.1:
	v_mov_b32_e32 v31, 0
	v_lshl_add_u64 v[2:3], s[6:7], 0, v[30:31]
	v_add_co_u32_e32 v4, vcc, 0x1000, v2
	global_load_dword v1, v30, s[6:7]
	global_load_dword v8, v30, s[6:7] offset:1024
	global_load_dword v9, v30, s[6:7] offset:2048
	;; [unrolled: 1-line block ×3, first 2 shown]
	v_addc_co_u32_e32 v5, vcc, 0, v3, vcc
	v_add_co_u32_e32 v6, vcc, 0x2000, v2
	s_mov_b64 s[4:5], 0
	s_nop 0
	v_addc_co_u32_e32 v7, vcc, 0, v3, vcc
	v_add_co_u32_e32 v2, vcc, 0x3000, v2
	global_load_dword v11, v[4:5], off
	global_load_dword v12, v[4:5], off offset:1024
	global_load_dword v13, v[4:5], off offset:2048
	;; [unrolled: 1-line block ×3, first 2 shown]
	global_load_dword v15, v[6:7], off
	global_load_dword v16, v[6:7], off offset:1024
	global_load_dword v17, v[6:7], off offset:2048
	;; [unrolled: 1-line block ×3, first 2 shown]
	v_addc_co_u32_e32 v3, vcc, 0, v3, vcc
	global_load_dword v4, v[2:3], off
	global_load_dword v5, v[2:3], off offset:1024
	s_waitcnt vmcnt(12)
	ds_write2st64_b32 v30, v1, v8 offset1:4
	s_waitcnt vmcnt(10)
	ds_write2st64_b32 v30, v9, v10 offset0:8 offset1:12
	s_waitcnt vmcnt(8)
	ds_write2st64_b32 v30, v11, v12 offset0:16 offset1:20
	;; [unrolled: 2-line block ×6, first 2 shown]
	s_waitcnt lgkmcnt(0)
	s_barrier
.LBB3_2:
	s_andn2_b64 vcc, exec, s[4:5]
	v_cmp_gt_u32_e64 s[4:5], s28, v0
	s_cbranch_vccnz .LBB3_32
; %bb.3:
	s_load_dword s8, s[6:7], 0x0
	v_mov_b32_e32 v31, 0
	v_lshl_add_u64 v[18:19], s[6:7], 0, v[30:31]
	s_waitcnt lgkmcnt(0)
	s_mov_b32 s9, s8
	s_mov_b32 s10, s8
	;; [unrolled: 1-line block ×13, first 2 shown]
	v_mov_b64_e32 v[2:3], s[8:9]
	v_mov_b64_e32 v[4:5], s[10:11]
	;; [unrolled: 1-line block ×7, first 2 shown]
	v_mov_b32_e32 v1, s8
	v_mov_b64_e32 v[16:17], s[22:23]
	s_and_saveexec_b64 s[6:7], s[4:5]
	s_cbranch_execz .LBB3_5
; %bb.4:
	global_load_dword v1, v[18:19], off
	v_mov_b32_e32 v3, s8
	v_mov_b32_e32 v4, s8
	;; [unrolled: 1-line block ×13, first 2 shown]
.LBB3_5:
	s_or_b64 exec, exec, s[6:7]
	v_or_b32_e32 v2, 0x100, v0
	v_cmp_gt_u32_e32 vcc, s28, v2
	s_and_saveexec_b64 s[4:5], vcc
	s_cbranch_execz .LBB3_7
; %bb.6:
	global_load_dword v3, v[18:19], off offset:1024
.LBB3_7:
	s_or_b64 exec, exec, s[4:5]
	v_or_b32_e32 v2, 0x200, v0
	v_cmp_gt_u32_e32 vcc, s28, v2
	s_and_saveexec_b64 s[4:5], vcc
	s_cbranch_execz .LBB3_9
; %bb.8:
	global_load_dword v4, v[18:19], off offset:2048
.LBB3_9:
	;; [unrolled: 8-line block ×3, first 2 shown]
	s_or_b64 exec, exec, s[4:5]
	v_or_b32_e32 v2, 0x400, v0
	v_cmp_gt_u32_e32 vcc, s28, v2
	s_and_saveexec_b64 s[4:5], vcc
	s_cbranch_execz .LBB3_13
; %bb.12:
	v_add_co_u32_e32 v16, vcc, 0x1000, v18
	s_nop 1
	v_addc_co_u32_e32 v17, vcc, 0, v19, vcc
	global_load_dword v6, v[16:17], off
.LBB3_13:
	s_or_b64 exec, exec, s[4:5]
	v_or_b32_e32 v2, 0x500, v0
	v_cmp_gt_u32_e32 vcc, s28, v2
	s_and_saveexec_b64 s[4:5], vcc
	s_cbranch_execz .LBB3_15
; %bb.14:
	v_add_co_u32_e32 v16, vcc, 0x1000, v18
	s_nop 1
	v_addc_co_u32_e32 v17, vcc, 0, v19, vcc
	global_load_dword v7, v[16:17], off offset:1024
.LBB3_15:
	s_or_b64 exec, exec, s[4:5]
	v_or_b32_e32 v2, 0x600, v0
	v_cmp_gt_u32_e32 vcc, s28, v2
	s_and_saveexec_b64 s[4:5], vcc
	s_cbranch_execz .LBB3_17
; %bb.16:
	v_add_co_u32_e32 v16, vcc, 0x1000, v18
	s_nop 1
	v_addc_co_u32_e32 v17, vcc, 0, v19, vcc
	global_load_dword v8, v[16:17], off offset:2048
.LBB3_17:
	s_or_b64 exec, exec, s[4:5]
	v_or_b32_e32 v2, 0x700, v0
	v_cmp_gt_u32_e32 vcc, s28, v2
	s_and_saveexec_b64 s[4:5], vcc
	s_cbranch_execz .LBB3_19
; %bb.18:
	v_add_co_u32_e32 v16, vcc, 0x1000, v18
	s_nop 1
	v_addc_co_u32_e32 v17, vcc, 0, v19, vcc
	global_load_dword v9, v[16:17], off offset:3072
.LBB3_19:
	s_or_b64 exec, exec, s[4:5]
	v_or_b32_e32 v2, 0x800, v0
	v_cmp_gt_u32_e32 vcc, s28, v2
	s_and_saveexec_b64 s[4:5], vcc
	s_cbranch_execz .LBB3_21
; %bb.20:
	v_add_co_u32_e32 v16, vcc, 0x2000, v18
	s_nop 1
	v_addc_co_u32_e32 v17, vcc, 0, v19, vcc
	global_load_dword v10, v[16:17], off
.LBB3_21:
	s_or_b64 exec, exec, s[4:5]
	v_or_b32_e32 v2, 0x900, v0
	v_cmp_gt_u32_e32 vcc, s28, v2
	s_and_saveexec_b64 s[4:5], vcc
	s_cbranch_execz .LBB3_23
; %bb.22:
	v_add_co_u32_e32 v16, vcc, 0x2000, v18
	s_nop 1
	v_addc_co_u32_e32 v17, vcc, 0, v19, vcc
	global_load_dword v11, v[16:17], off offset:1024
.LBB3_23:
	s_or_b64 exec, exec, s[4:5]
	v_or_b32_e32 v2, 0xa00, v0
	v_cmp_gt_u32_e32 vcc, s28, v2
	s_and_saveexec_b64 s[4:5], vcc
	s_cbranch_execz .LBB3_25
; %bb.24:
	v_add_co_u32_e32 v16, vcc, 0x2000, v18
	s_nop 1
	v_addc_co_u32_e32 v17, vcc, 0, v19, vcc
	global_load_dword v12, v[16:17], off offset:2048
.LBB3_25:
	;; [unrolled: 11-line block ×3, first 2 shown]
	s_or_b64 exec, exec, s[4:5]
	v_or_b32_e32 v2, 0xc00, v0
	v_cmp_gt_u32_e32 vcc, s28, v2
	s_and_saveexec_b64 s[4:5], vcc
	s_cbranch_execz .LBB3_29
; %bb.28:
	v_add_co_u32_e32 v16, vcc, 0x3000, v18
	s_nop 1
	v_addc_co_u32_e32 v17, vcc, 0, v19, vcc
	global_load_dword v14, v[16:17], off
.LBB3_29:
	s_or_b64 exec, exec, s[4:5]
	v_or_b32_e32 v2, 0xd00, v0
	v_cmp_gt_u32_e32 vcc, s28, v2
	s_and_saveexec_b64 s[4:5], vcc
	s_cbranch_execz .LBB3_31
; %bb.30:
	v_add_co_u32_e32 v16, vcc, 0x3000, v18
	s_nop 1
	v_addc_co_u32_e32 v17, vcc, 0, v19, vcc
	global_load_dword v15, v[16:17], off offset:1024
.LBB3_31:
	s_or_b64 exec, exec, s[4:5]
	s_waitcnt vmcnt(0)
	ds_write2st64_b32 v30, v1, v3 offset1:4
	ds_write2st64_b32 v30, v4, v5 offset0:8 offset1:12
	ds_write2st64_b32 v30, v6, v7 offset0:16 offset1:20
	;; [unrolled: 1-line block ×6, first 2 shown]
	s_waitcnt lgkmcnt(0)
	s_barrier
.LBB3_32:
	v_mul_u32_u24_e32 v1, 56, v0
	ds_read2_b64 v[26:29], v1 offset1:1
	ds_read2_b64 v[22:25], v1 offset0:2 offset1:3
	ds_read2_b64 v[18:21], v1 offset0:4 offset1:5
	ds_read_b64 v[32:33], v1 offset:48
	s_load_dwordx2 s[8:9], s[0:1], 0x20
	s_cmp_lg_u32 s2, 0
	v_mbcnt_lo_u32_b32 v35, -1, 0
	v_lshrrev_b32_e32 v31, 6, v0
	v_or_b32_e32 v34, 63, v0
	s_waitcnt lgkmcnt(0)
	s_barrier
	s_cbranch_scc0 .LBB3_54
; %bb.33:
	v_add_u32_e32 v2, v27, v26
	v_add3_u32 v2, v2, v28, v29
	v_add3_u32 v2, v2, v22, v23
	;; [unrolled: 1-line block ×5, first 2 shown]
	v_mbcnt_hi_u32_b32 v5, -1, v35
	v_add3_u32 v2, v2, v32, v33
	v_and_b32_e32 v3, 15, v5
	v_cmp_ne_u32_e32 vcc, 0, v3
	v_mov_b32_dpp v4, v2 row_shr:1 row_mask:0xf bank_mask:0xf
	s_nop 0
	v_cndmask_b32_e32 v4, 0, v4, vcc
	v_add_u32_e32 v2, v4, v2
	v_cmp_lt_u32_e32 vcc, 1, v3
	s_nop 0
	v_mov_b32_dpp v4, v2 row_shr:2 row_mask:0xf bank_mask:0xf
	v_cndmask_b32_e32 v4, 0, v4, vcc
	v_add_u32_e32 v2, v2, v4
	v_cmp_lt_u32_e32 vcc, 3, v3
	s_nop 0
	v_mov_b32_dpp v4, v2 row_shr:4 row_mask:0xf bank_mask:0xf
	;; [unrolled: 5-line block ×3, first 2 shown]
	v_cndmask_b32_e32 v3, 0, v4, vcc
	v_add_u32_e32 v2, v2, v3
	v_bfe_i32 v4, v5, 4, 1
	v_cmp_lt_u32_e32 vcc, 31, v5
	v_mov_b32_dpp v3, v2 row_bcast:15 row_mask:0xf bank_mask:0xf
	v_and_b32_e32 v3, v4, v3
	v_add_u32_e32 v2, v2, v3
	s_nop 1
	v_mov_b32_dpp v3, v2 row_bcast:31 row_mask:0xf bank_mask:0xf
	v_cndmask_b32_e32 v3, 0, v3, vcc
	v_add_u32_e32 v2, v2, v3
	v_cmp_eq_u32_e32 vcc, v0, v34
	s_and_saveexec_b64 s[4:5], vcc
; %bb.34:
	v_lshlrev_b32_e32 v3, 2, v31
	ds_write_b32 v3, v2
; %bb.35:
	s_or_b64 exec, exec, s[4:5]
	v_cmp_gt_u32_e32 vcc, 4, v0
	s_waitcnt lgkmcnt(0)
	s_barrier
	s_and_saveexec_b64 s[4:5], vcc
	s_cbranch_execz .LBB3_37
; %bb.36:
	ds_read_b32 v3, v30
	v_and_b32_e32 v4, 3, v5
	v_cmp_ne_u32_e32 vcc, 0, v4
	s_waitcnt lgkmcnt(0)
	v_mov_b32_dpp v6, v3 row_shr:1 row_mask:0xf bank_mask:0xf
	v_cndmask_b32_e32 v6, 0, v6, vcc
	v_add_u32_e32 v3, v6, v3
	v_cmp_lt_u32_e32 vcc, 1, v4
	s_nop 0
	v_mov_b32_dpp v6, v3 row_shr:2 row_mask:0xf bank_mask:0xf
	v_cndmask_b32_e32 v4, 0, v6, vcc
	v_add_u32_e32 v3, v3, v4
	ds_write_b32 v30, v3
.LBB3_37:
	s_or_b64 exec, exec, s[4:5]
	v_cmp_gt_u32_e32 vcc, 64, v0
	v_cmp_lt_u32_e64 s[4:5], 63, v0
	s_waitcnt lgkmcnt(0)
	s_barrier
                                        ; implicit-def: $vgpr12
	s_and_saveexec_b64 s[6:7], s[4:5]
	s_cbranch_execz .LBB3_39
; %bb.38:
	v_lshl_add_u32 v3, v31, 2, -4
	ds_read_b32 v12, v3
	s_waitcnt lgkmcnt(0)
	v_add_u32_e32 v2, v12, v2
.LBB3_39:
	s_or_b64 exec, exec, s[6:7]
	v_subrev_co_u32_e64 v3, s[4:5], 1, v5
	v_and_b32_e32 v4, 64, v5
	v_cmp_lt_i32_e64 s[6:7], v3, v4
	s_nop 1
	v_cndmask_b32_e64 v3, v3, v5, s[6:7]
	v_lshlrev_b32_e32 v3, 2, v3
	ds_bpermute_b32 v13, v3, v2
	s_and_saveexec_b64 s[6:7], vcc
	s_cbranch_execz .LBB3_59
; %bb.40:
	v_mov_b32_e32 v9, 0
	ds_read_b32 v2, v9 offset:12
	s_and_saveexec_b64 s[10:11], s[4:5]
	s_cbranch_execz .LBB3_42
; %bb.41:
	s_add_i32 s12, s2, 64
	s_mov_b32 s13, 0
	s_lshl_b64 s[12:13], s[12:13], 3
	s_add_u32 s12, s8, s12
	v_mov_b32_e32 v3, 1
	s_addc_u32 s13, s9, s13
	s_waitcnt lgkmcnt(0)
	global_store_dwordx2 v9, v[2:3], s[12:13] sc1
.LBB3_42:
	s_or_b64 exec, exec, s[10:11]
	v_xad_u32 v4, v5, -1, s2
	v_add_u32_e32 v8, 64, v4
	v_lshl_add_u64 v[10:11], v[8:9], 3, s[8:9]
	global_load_dwordx2 v[6:7], v[10:11], off sc1
	s_waitcnt vmcnt(0)
	v_cmp_eq_u16_sdwa s[12:13], v7, v9 src0_sel:BYTE_0 src1_sel:DWORD
	s_and_saveexec_b64 s[10:11], s[12:13]
	s_cbranch_execz .LBB3_46
; %bb.43:
	s_mov_b64 s[12:13], 0
	v_mov_b32_e32 v3, 0
.LBB3_44:                               ; =>This Inner Loop Header: Depth=1
	global_load_dwordx2 v[6:7], v[10:11], off sc1
	s_waitcnt vmcnt(0)
	v_cmp_ne_u16_sdwa s[14:15], v7, v3 src0_sel:BYTE_0 src1_sel:DWORD
	s_or_b64 s[12:13], s[14:15], s[12:13]
	s_andn2_b64 exec, exec, s[12:13]
	s_cbranch_execnz .LBB3_44
; %bb.45:
	s_or_b64 exec, exec, s[12:13]
.LBB3_46:
	s_or_b64 exec, exec, s[10:11]
	v_and_b32_e32 v38, 63, v5
	v_mov_b32_e32 v3, 2
	v_cmp_ne_u32_e32 vcc, 63, v38
	v_cmp_eq_u16_sdwa s[10:11], v7, v3 src0_sel:BYTE_0 src1_sel:DWORD
	v_lshlrev_b64 v[8:9], v5, -1
	v_addc_co_u32_e32 v14, vcc, 0, v5, vcc
	v_and_b32_e32 v10, s11, v9
	v_lshlrev_b32_e32 v14, 2, v14
	v_or_b32_e32 v10, 0x80000000, v10
	ds_bpermute_b32 v16, v14, v6
	v_and_b32_e32 v11, s10, v8
	v_ffbl_b32_e32 v10, v10
	v_add_u32_e32 v10, 32, v10
	v_ffbl_b32_e32 v11, v11
	v_min_u32_e32 v10, v11, v10
	v_add_u32_e32 v15, 1, v5
	v_cmp_le_u32_e32 vcc, v15, v10
	v_add_u32_e32 v17, 2, v5
	v_add_u32_e32 v37, 4, v5
	s_waitcnt lgkmcnt(0)
	v_cndmask_b32_e32 v11, 0, v16, vcc
	v_cmp_gt_u32_e32 vcc, 62, v38
	v_add_u32_e32 v6, v11, v6
	v_add_u32_e32 v40, 8, v5
	v_cndmask_b32_e64 v11, 0, 2, vcc
	v_add_lshl_u32 v16, v11, v5, 2
	ds_bpermute_b32 v11, v16, v6
	v_cmp_le_u32_e32 vcc, v17, v10
	v_add_u32_e32 v42, 16, v5
	v_add_u32_e32 v44, 32, v5
	s_waitcnt lgkmcnt(0)
	v_cndmask_b32_e32 v11, 0, v11, vcc
	v_cmp_gt_u32_e32 vcc, 60, v38
	v_add_u32_e32 v6, v6, v11
	s_nop 0
	v_cndmask_b32_e64 v11, 0, 4, vcc
	v_add_lshl_u32 v36, v11, v5, 2
	ds_bpermute_b32 v11, v36, v6
	v_cmp_le_u32_e32 vcc, v37, v10
	s_waitcnt lgkmcnt(0)
	s_nop 0
	v_cndmask_b32_e32 v11, 0, v11, vcc
	v_cmp_gt_u32_e32 vcc, 56, v38
	v_add_u32_e32 v6, v6, v11
	s_nop 0
	v_cndmask_b32_e64 v11, 0, 8, vcc
	v_add_lshl_u32 v39, v11, v5, 2
	ds_bpermute_b32 v11, v39, v6
	v_cmp_le_u32_e32 vcc, v40, v10
	s_waitcnt lgkmcnt(0)
	s_nop 0
	;; [unrolled: 10-line block ×3, first 2 shown]
	v_cndmask_b32_e32 v11, 0, v11, vcc
	v_add_u32_e32 v6, v6, v11
	v_mov_b32_e32 v11, 0x80
	v_lshl_or_b32 v43, v5, 2, v11
	ds_bpermute_b32 v11, v43, v6
	v_cmp_le_u32_e32 vcc, v44, v10
	s_waitcnt lgkmcnt(0)
	s_nop 0
	v_cndmask_b32_e32 v5, 0, v11, vcc
	v_add_u32_e32 v6, v6, v5
	v_mov_b32_e32 v5, 0
	s_branch .LBB3_50
.LBB3_47:                               ;   in Loop: Header=BB3_50 Depth=1
	s_or_b64 exec, exec, s[12:13]
.LBB3_48:                               ;   in Loop: Header=BB3_50 Depth=1
	s_or_b64 exec, exec, s[10:11]
	v_cmp_eq_u16_sdwa s[10:11], v7, v3 src0_sel:BYTE_0 src1_sel:DWORD
	ds_bpermute_b32 v45, v14, v6
	v_subrev_u32_e32 v4, 64, v4
	v_and_b32_e32 v10, s11, v9
	v_or_b32_e32 v10, 0x80000000, v10
	v_and_b32_e32 v11, s10, v8
	v_ffbl_b32_e32 v10, v10
	v_add_u32_e32 v10, 32, v10
	v_ffbl_b32_e32 v11, v11
	v_min_u32_e32 v10, v11, v10
	v_cmp_le_u32_e32 vcc, v15, v10
	s_mov_b64 s[10:11], 0
	s_waitcnt lgkmcnt(0)
	v_cndmask_b32_e32 v11, 0, v45, vcc
	v_add_u32_e32 v6, v11, v6
	ds_bpermute_b32 v11, v16, v6
	v_cmp_le_u32_e32 vcc, v17, v10
	s_waitcnt lgkmcnt(0)
	s_nop 0
	v_cndmask_b32_e32 v11, 0, v11, vcc
	v_add_u32_e32 v6, v6, v11
	ds_bpermute_b32 v11, v36, v6
	v_cmp_le_u32_e32 vcc, v37, v10
	s_waitcnt lgkmcnt(0)
	s_nop 0
	;; [unrolled: 6-line block ×5, first 2 shown]
	v_cndmask_b32_e32 v10, 0, v11, vcc
	v_add3_u32 v6, v10, v38, v6
.LBB3_49:                               ;   in Loop: Header=BB3_50 Depth=1
	s_and_b64 vcc, exec, s[10:11]
	s_cbranch_vccnz .LBB3_55
.LBB3_50:                               ; =>This Loop Header: Depth=1
                                        ;     Child Loop BB3_53 Depth 2
	v_cmp_ne_u16_sdwa s[10:11], v7, v3 src0_sel:BYTE_0 src1_sel:DWORD
	v_mov_b32_e32 v38, v6
	s_cmp_lg_u64 s[10:11], exec
	s_mov_b64 s[10:11], -1
                                        ; implicit-def: $vgpr6
                                        ; implicit-def: $vgpr7
	s_cbranch_scc1 .LBB3_49
; %bb.51:                               ;   in Loop: Header=BB3_50 Depth=1
	v_lshl_add_u64 v[10:11], v[4:5], 3, s[8:9]
	global_load_dwordx2 v[6:7], v[10:11], off sc1
	s_waitcnt vmcnt(0)
	v_cmp_eq_u16_sdwa s[12:13], v7, v5 src0_sel:BYTE_0 src1_sel:DWORD
	s_and_saveexec_b64 s[10:11], s[12:13]
	s_cbranch_execz .LBB3_48
; %bb.52:                               ;   in Loop: Header=BB3_50 Depth=1
	s_mov_b64 s[12:13], 0
.LBB3_53:                               ;   Parent Loop BB3_50 Depth=1
                                        ; =>  This Inner Loop Header: Depth=2
	global_load_dwordx2 v[6:7], v[10:11], off sc1
	s_waitcnt vmcnt(0)
	v_cmp_ne_u16_sdwa s[14:15], v7, v5 src0_sel:BYTE_0 src1_sel:DWORD
	s_or_b64 s[12:13], s[14:15], s[12:13]
	s_andn2_b64 exec, exec, s[12:13]
	s_cbranch_execnz .LBB3_53
	s_branch .LBB3_47
.LBB3_54:
                                        ; implicit-def: $vgpr2_vgpr3_vgpr4_vgpr5_vgpr6_vgpr7_vgpr8_vgpr9_vgpr10_vgpr11_vgpr12_vgpr13_vgpr14_vgpr15_vgpr16_vgpr17
	s_load_dwordx4 s[4:7], s[0:1], 0x30
	s_cbranch_execnz .LBB3_60
	s_branch .LBB3_71
.LBB3_55:
	s_and_saveexec_b64 s[10:11], s[4:5]
	s_cbranch_execz .LBB3_57
; %bb.56:
	s_add_i32 s2, s2, 64
	s_mov_b32 s3, 0
	s_lshl_b64 s[2:3], s[2:3], 3
	s_add_u32 s2, s8, s2
	v_add_u32_e32 v2, v38, v2
	v_mov_b32_e32 v3, 2
	s_addc_u32 s3, s9, s3
	v_mov_b32_e32 v4, 0
	global_store_dwordx2 v4, v[2:3], s[2:3] sc1
.LBB3_57:
	s_or_b64 exec, exec, s[10:11]
	v_cmp_eq_u32_e32 vcc, 0, v0
	s_and_b64 exec, exec, vcc
; %bb.58:
	v_mov_b32_e32 v2, 0
	ds_write_b32 v2, v38 offset:12
.LBB3_59:
	s_or_b64 exec, exec, s[6:7]
	v_mov_b32_e32 v2, 0
	s_waitcnt lgkmcnt(0)
	s_barrier
	ds_read_b32 v2, v2 offset:12
	v_cndmask_b32_e64 v3, v13, v12, s[4:5]
	v_cmp_ne_u32_e32 vcc, 0, v0
	s_nop 1
	v_cndmask_b32_e32 v3, 0, v3, vcc
	s_waitcnt lgkmcnt(0)
	v_add3_u32 v2, v3, v26, v2
	v_add_u32_e32 v3, v2, v27
	v_add_u32_e32 v4, v3, v28
	;; [unrolled: 1-line block ×13, first 2 shown]
	s_load_dwordx4 s[4:7], s[0:1], 0x30
	s_branch .LBB3_71
.LBB3_60:
	s_load_dword s2, s[0:1], 0x40
	v_cmp_eq_u32_e32 vcc, 0, v0
	s_waitcnt lgkmcnt(0)
	s_bitcmp1_b32 s2, 0
	s_cselect_b64 s[2:3], -1, 0
	s_and_b64 s[10:11], vcc, s[2:3]
	s_and_saveexec_b64 s[2:3], s[10:11]
	s_cbranch_execz .LBB3_62
; %bb.61:
	v_mov_b32_e32 v2, 0
	global_load_dword v2, v2, s[4:5]
	s_waitcnt vmcnt(0)
	v_add_u32_e32 v26, v2, v26
.LBB3_62:
	s_or_b64 exec, exec, s[2:3]
	v_add_u32_e32 v2, v27, v26
	v_add3_u32 v2, v2, v28, v29
	v_add3_u32 v2, v2, v22, v23
	;; [unrolled: 1-line block ×6, first 2 shown]
	v_mbcnt_hi_u32_b32 v2, -1, v35
	v_and_b32_e32 v4, 15, v2
	v_mov_b32_dpp v5, v3 row_shr:1 row_mask:0xf bank_mask:0xf
	v_cmp_ne_u32_e64 s[2:3], 0, v4
	s_nop 1
	v_cndmask_b32_e64 v5, 0, v5, s[2:3]
	v_add_u32_e32 v3, v3, v5
	v_cmp_lt_u32_e64 s[2:3], 1, v4
	s_nop 0
	v_mov_b32_dpp v5, v3 row_shr:2 row_mask:0xf bank_mask:0xf
	v_cndmask_b32_e64 v5, 0, v5, s[2:3]
	v_add_u32_e32 v3, v3, v5
	v_cmp_lt_u32_e64 s[2:3], 3, v4
	s_nop 0
	v_mov_b32_dpp v5, v3 row_shr:4 row_mask:0xf bank_mask:0xf
	;; [unrolled: 5-line block ×3, first 2 shown]
	v_cndmask_b32_e64 v4, 0, v5, s[2:3]
	v_add_u32_e32 v3, v3, v4
	v_bfe_i32 v5, v2, 4, 1
	v_cmp_lt_u32_e64 s[2:3], 31, v2
	v_mov_b32_dpp v4, v3 row_bcast:15 row_mask:0xf bank_mask:0xf
	v_and_b32_e32 v4, v5, v4
	v_add_u32_e32 v3, v3, v4
	s_nop 1
	v_mov_b32_dpp v4, v3 row_bcast:31 row_mask:0xf bank_mask:0xf
	v_cndmask_b32_e64 v4, 0, v4, s[2:3]
	v_add_u32_e32 v3, v3, v4
	v_cmp_eq_u32_e64 s[2:3], v0, v34
	s_and_saveexec_b64 s[4:5], s[2:3]
; %bb.63:
	v_lshlrev_b32_e32 v4, 2, v31
	ds_write_b32 v4, v3
; %bb.64:
	s_or_b64 exec, exec, s[4:5]
	v_cmp_gt_u32_e64 s[2:3], 4, v0
	s_waitcnt lgkmcnt(0)
	s_barrier
	s_and_saveexec_b64 s[4:5], s[2:3]
	s_cbranch_execz .LBB3_66
; %bb.65:
	s_movk_i32 s2, 0xffcc
	v_mad_i32_i24 v4, v0, s2, v1
	ds_read_b32 v5, v4
	v_and_b32_e32 v6, 3, v2
	v_cmp_ne_u32_e64 s[2:3], 0, v6
	s_waitcnt lgkmcnt(0)
	v_mov_b32_dpp v7, v5 row_shr:1 row_mask:0xf bank_mask:0xf
	v_cndmask_b32_e64 v7, 0, v7, s[2:3]
	v_add_u32_e32 v5, v7, v5
	v_cmp_lt_u32_e64 s[2:3], 1, v6
	s_nop 0
	v_mov_b32_dpp v7, v5 row_shr:2 row_mask:0xf bank_mask:0xf
	v_cndmask_b32_e64 v6, 0, v7, s[2:3]
	v_add_u32_e32 v5, v5, v6
	ds_write_b32 v4, v5
.LBB3_66:
	s_or_b64 exec, exec, s[4:5]
	v_cmp_lt_u32_e64 s[2:3], 63, v0
	s_waitcnt lgkmcnt(0)
	s_barrier
                                        ; implicit-def: $vgpr4
	s_and_saveexec_b64 s[4:5], s[2:3]
	s_cbranch_execz .LBB3_68
; %bb.67:
	v_lshl_add_u32 v4, v31, 2, -4
	ds_read_b32 v4, v4
	s_waitcnt lgkmcnt(0)
	v_add_u32_e32 v3, v4, v3
.LBB3_68:
	s_or_b64 exec, exec, s[4:5]
	v_subrev_co_u32_e64 v5, s[2:3], 1, v2
	v_and_b32_e32 v6, 64, v2
	v_cmp_lt_i32_e64 s[4:5], v5, v6
	s_nop 1
	v_cndmask_b32_e64 v2, v5, v2, s[4:5]
	v_lshlrev_b32_e32 v2, 2, v2
	ds_bpermute_b32 v2, v2, v3
	s_waitcnt lgkmcnt(0)
	v_cndmask_b32_e64 v2, v2, v4, s[2:3]
	v_cndmask_b32_e64 v2, v2, 0, vcc
	v_add_u32_e32 v2, v2, v26
	v_add_u32_e32 v3, v2, v27
	;; [unrolled: 1-line block ×14, first 2 shown]
	s_and_saveexec_b64 s[2:3], vcc
	s_cbranch_execz .LBB3_70
; %bb.69:
	v_mov_b32_e32 v16, 0
	ds_read_b32 v18, v16 offset:12
	v_mov_b32_e32 v19, 2
	s_waitcnt lgkmcnt(0)
	global_store_dwordx2 v16, v[18:19], s[8:9] offset:512 sc1
.LBB3_70:
	s_or_b64 exec, exec, s[2:3]
.LBB3_71:
	s_add_u32 s2, s22, s26
	s_addc_u32 s3, s23, s27
	s_waitcnt lgkmcnt(0)
	s_mov_b64 s[4:5], -1
	s_and_b64 vcc, exec, s[24:25]
	s_barrier
	s_cbranch_vccz .LBB3_73
; %bb.72:
	v_mov_b32_e32 v31, 0
	ds_write2_b64 v1, v[2:3], v[4:5] offset1:1
	ds_write2_b64 v1, v[6:7], v[8:9] offset0:2 offset1:3
	ds_write2_b64 v1, v[10:11], v[12:13] offset0:4 offset1:5
	ds_write_b64 v1, v[14:15] offset:48
	s_waitcnt lgkmcnt(0)
	s_barrier
	ds_read2st64_b32 v[16:17], v30 offset1:4
	ds_read2st64_b32 v[18:19], v30 offset0:8 offset1:12
	ds_read2st64_b32 v[20:21], v30 offset0:16 offset1:20
	;; [unrolled: 1-line block ×6, first 2 shown]
	v_lshl_add_u64 v[32:33], s[2:3], 0, v[30:31]
	s_movk_i32 s4, 0x1000
	s_waitcnt lgkmcnt(6)
	global_store_dword v30, v16, s[2:3]
	global_store_dword v30, v17, s[2:3] offset:1024
	s_waitcnt lgkmcnt(5)
	global_store_dword v30, v18, s[2:3] offset:2048
	global_store_dword v30, v19, s[2:3] offset:3072
	v_add_co_u32_e32 v16, vcc, s4, v32
	s_movk_i32 s4, 0x2000
	s_nop 0
	v_addc_co_u32_e32 v17, vcc, 0, v33, vcc
	v_add_co_u32_e32 v18, vcc, s4, v32
	s_mov_b64 s[4:5], 0
	s_nop 0
	v_addc_co_u32_e32 v19, vcc, 0, v33, vcc
	s_waitcnt lgkmcnt(4)
	global_store_dword v[18:19], v20, off offset:-4096
	global_store_dword v[16:17], v21, off offset:1024
	s_waitcnt lgkmcnt(3)
	global_store_dword v[16:17], v22, off offset:2048
	global_store_dword v[16:17], v23, off offset:3072
	s_waitcnt lgkmcnt(2)
	global_store_dword v[18:19], v24, off
	global_store_dword v[18:19], v25, off offset:1024
	s_waitcnt lgkmcnt(1)
	global_store_dword v[18:19], v26, off offset:2048
	global_store_dword v[18:19], v27, off offset:3072
	v_add_co_u32_e32 v16, vcc, 0x3000, v32
	s_nop 1
	v_addc_co_u32_e32 v17, vcc, 0, v33, vcc
	s_waitcnt lgkmcnt(0)
	global_store_dword v[16:17], v28, off
	global_store_dword v[16:17], v29, off offset:1024
.LBB3_73:
	s_andn2_b64 vcc, exec, s[4:5]
	s_cbranch_vccnz .LBB3_153
; %bb.74:
	ds_write2_b64 v1, v[2:3], v[4:5] offset1:1
	ds_write2_b64 v1, v[6:7], v[8:9] offset0:2 offset1:3
	ds_write2_b64 v1, v[10:11], v[12:13] offset0:4 offset1:5
	ds_write_b64 v1, v[14:15] offset:48
	s_waitcnt lgkmcnt(0)
	s_barrier
	ds_read2st64_b32 v[6:7], v30 offset1:4
	ds_read2st64_b32 v[8:9], v30 offset0:8 offset1:12
	ds_read2st64_b32 v[10:11], v30 offset0:16 offset1:20
	;; [unrolled: 1-line block ×6, first 2 shown]
	v_mov_b32_e32 v31, 0
	v_lshl_add_u64 v[2:3], s[2:3], 0, v[30:31]
	v_cmp_gt_u32_e32 vcc, s28, v0
	s_and_saveexec_b64 s[2:3], vcc
	s_cbranch_execz .LBB3_76
; %bb.75:
	s_waitcnt lgkmcnt(6)
	global_store_dword v[2:3], v6, off
.LBB3_76:
	s_or_b64 exec, exec, s[2:3]
	v_or_b32_e32 v1, 0x100, v0
	v_cmp_gt_u32_e32 vcc, s28, v1
	s_and_saveexec_b64 s[2:3], vcc
	s_cbranch_execz .LBB3_78
; %bb.77:
	s_waitcnt lgkmcnt(6)
	global_store_dword v[2:3], v7, off offset:1024
.LBB3_78:
	s_or_b64 exec, exec, s[2:3]
	v_or_b32_e32 v1, 0x200, v0
	v_cmp_gt_u32_e32 vcc, s28, v1
	s_and_saveexec_b64 s[2:3], vcc
	s_cbranch_execz .LBB3_80
; %bb.79:
	s_waitcnt lgkmcnt(5)
	global_store_dword v[2:3], v8, off offset:2048
.LBB3_80:
	;; [unrolled: 9-line block ×3, first 2 shown]
	s_or_b64 exec, exec, s[2:3]
	v_or_b32_e32 v1, 0x400, v0
	v_cmp_gt_u32_e32 vcc, s28, v1
	s_and_saveexec_b64 s[2:3], vcc
	s_cbranch_execz .LBB3_84
; %bb.83:
	v_add_co_u32_e32 v18, vcc, 0x1000, v2
	s_nop 1
	v_addc_co_u32_e32 v19, vcc, 0, v3, vcc
	s_waitcnt lgkmcnt(4)
	global_store_dword v[18:19], v10, off
.LBB3_84:
	s_or_b64 exec, exec, s[2:3]
	v_or_b32_e32 v1, 0x500, v0
	v_cmp_gt_u32_e32 vcc, s28, v1
	s_and_saveexec_b64 s[2:3], vcc
	s_cbranch_execz .LBB3_86
; %bb.85:
	v_add_co_u32_e32 v18, vcc, 0x1000, v2
	s_nop 1
	v_addc_co_u32_e32 v19, vcc, 0, v3, vcc
	s_waitcnt lgkmcnt(4)
	global_store_dword v[18:19], v11, off offset:1024
.LBB3_86:
	s_or_b64 exec, exec, s[2:3]
	v_or_b32_e32 v1, 0x600, v0
	v_cmp_gt_u32_e32 vcc, s28, v1
	s_and_saveexec_b64 s[2:3], vcc
	s_cbranch_execz .LBB3_88
; %bb.87:
	v_add_co_u32_e32 v18, vcc, 0x1000, v2
	s_nop 1
	v_addc_co_u32_e32 v19, vcc, 0, v3, vcc
	s_waitcnt lgkmcnt(3)
	global_store_dword v[18:19], v4, off offset:2048
.LBB3_88:
	;; [unrolled: 12-line block ×3, first 2 shown]
	s_or_b64 exec, exec, s[2:3]
	v_or_b32_e32 v1, 0x800, v0
	v_cmp_gt_u32_e32 vcc, s28, v1
	s_and_saveexec_b64 s[2:3], vcc
	s_cbranch_execz .LBB3_92
; %bb.91:
	v_add_co_u32_e32 v18, vcc, 0x2000, v2
	s_nop 1
	v_addc_co_u32_e32 v19, vcc, 0, v3, vcc
	s_waitcnt lgkmcnt(2)
	global_store_dword v[18:19], v14, off
.LBB3_92:
	s_or_b64 exec, exec, s[2:3]
	v_or_b32_e32 v1, 0x900, v0
	v_cmp_gt_u32_e32 vcc, s28, v1
	s_and_saveexec_b64 s[2:3], vcc
	s_cbranch_execz .LBB3_94
; %bb.93:
	v_add_co_u32_e32 v18, vcc, 0x2000, v2
	s_nop 1
	v_addc_co_u32_e32 v19, vcc, 0, v3, vcc
	s_waitcnt lgkmcnt(2)
	global_store_dword v[18:19], v15, off offset:1024
.LBB3_94:
	s_or_b64 exec, exec, s[2:3]
	v_or_b32_e32 v1, 0xa00, v0
	v_cmp_gt_u32_e32 vcc, s28, v1
	s_and_saveexec_b64 s[2:3], vcc
	s_cbranch_execz .LBB3_96
; %bb.95:
	v_add_co_u32_e32 v18, vcc, 0x2000, v2
	s_nop 1
	v_addc_co_u32_e32 v19, vcc, 0, v3, vcc
	s_waitcnt lgkmcnt(1)
	global_store_dword v[18:19], v12, off offset:2048
.LBB3_96:
	s_or_b64 exec, exec, s[2:3]
	v_or_b32_e32 v1, 0xb00, v0
	v_cmp_gt_u32_e32 vcc, s28, v1
	s_and_saveexec_b64 s[2:3], vcc
	s_cbranch_execz .LBB3_98
; %bb.97:
	v_add_co_u32_e32 v18, vcc, 0x2000, v2
	s_nop 1
	v_addc_co_u32_e32 v19, vcc, 0, v3, vcc
	s_waitcnt lgkmcnt(1)
	global_store_dword v[18:19], v13, off offset:3072
.LBB3_98:
	s_or_b64 exec, exec, s[2:3]
	v_or_b32_e32 v1, 0xc00, v0
	v_cmp_gt_u32_e32 vcc, s28, v1
	s_and_saveexec_b64 s[2:3], vcc
	s_cbranch_execz .LBB3_100
; %bb.99:
	v_add_co_u32_e32 v18, vcc, 0x3000, v2
	s_nop 1
	v_addc_co_u32_e32 v19, vcc, 0, v3, vcc
	s_waitcnt lgkmcnt(0)
	global_store_dword v[18:19], v16, off
.LBB3_100:
	s_or_b64 exec, exec, s[2:3]
	v_or_b32_e32 v1, 0xd00, v0
	v_cmp_gt_u32_e32 vcc, s28, v1
	s_and_saveexec_b64 s[2:3], vcc
	s_cbranch_execz .LBB3_102
; %bb.101:
	v_add_co_u32_e32 v2, vcc, 0x3000, v2
	s_nop 1
	v_addc_co_u32_e32 v3, vcc, 0, v3, vcc
	s_waitcnt lgkmcnt(0)
	global_store_dword v[2:3], v17, off offset:1024
.LBB3_102:
	s_or_b64 exec, exec, s[2:3]
	s_load_dword s0, s[0:1], 0x40
	s_waitcnt lgkmcnt(0)
	s_bfe_u32 s0, s0, 0x10008
	s_cmp_eq_u32 s0, 0
	s_cbranch_scc1 .LBB3_153
; %bb.103:
	s_add_u32 s0, s28, -1
	s_addc_u32 s1, s29, -1
	s_lshr_b64 s[2:3], s[0:1], 1
	s_lshr_b32 s5, s1, 1
	s_mul_hi_u32 s3, s2, 0x49249249
	s_mul_i32 s4, s2, 0x49249249
	s_mul_i32 s9, s5, 0x24924925
	s_mul_hi_u32 s2, s2, 0x24924925
	s_mul_hi_u32 s8, s5, 0x24924925
	s_add_u32 s2, s9, s2
	s_addc_u32 s8, s8, 0
	s_add_u32 s2, s4, s2
	s_addc_u32 s2, s3, 0
	;; [unrolled: 2-line block ×3, first 2 shown]
	s_mul_hi_u32 s4, s5, 0x49249249
	s_mul_i32 s5, s5, 0x49249249
	s_add_u32 s2, s5, s2
	s_addc_u32 s3, s4, s3
	v_mov_b32_e32 v1, v31
	s_lshr_b64 s[2:3], s[2:3], 1
	v_cmp_eq_u64_e32 vcc, s[2:3], v[0:1]
	s_and_saveexec_b64 s[2:3], vcc
	s_cbranch_execz .LBB3_153
; %bb.104:
	v_mul_hi_u32_u24_e32 v1, 14, v0
	v_mul_u32_u24_e32 v0, 14, v0
	v_mov_b32_e32 v2, s1
	v_sub_co_u32_e32 v0, vcc, s0, v0
	s_nop 1
	v_subb_co_u32_e32 v1, vcc, v2, v1, vcc
	v_cmp_lt_i64_e32 vcc, 6, v[0:1]
	s_and_saveexec_b64 s[0:1], vcc
	s_xor_b64 s[0:1], exec, s[0:1]
	s_cbranch_execz .LBB3_130
; %bb.105:
	v_cmp_lt_i64_e32 vcc, 9, v[0:1]
	s_and_saveexec_b64 s[2:3], vcc
	s_xor_b64 s[2:3], exec, s[2:3]
	s_cbranch_execz .LBB3_119
; %bb.106:
	;; [unrolled: 5-line block ×4, first 2 shown]
	v_mov_b32_e32 v0, 0
	global_store_dword v0, v17, s[6:7]
                                        ; implicit-def: $vgpr16_vgpr17
.LBB3_109:
	s_andn2_saveexec_b64 s[8:9], s[8:9]
	s_cbranch_execz .LBB3_111
; %bb.110:
	v_mov_b32_e32 v0, 0
	global_store_dword v0, v16, s[6:7]
.LBB3_111:
	s_or_b64 exec, exec, s[8:9]
                                        ; implicit-def: $vgpr12_vgpr13
                                        ; implicit-def: $vgpr0_vgpr1
.LBB3_112:
	s_andn2_saveexec_b64 s[4:5], s[4:5]
	s_cbranch_execz .LBB3_118
; %bb.113:
	v_cmp_lt_i64_e32 vcc, 10, v[0:1]
	s_and_saveexec_b64 s[8:9], vcc
	s_xor_b64 s[8:9], exec, s[8:9]
	s_cbranch_execz .LBB3_115
; %bb.114:
	v_mov_b32_e32 v0, 0
	global_store_dword v0, v13, s[6:7]
                                        ; implicit-def: $vgpr12_vgpr13
.LBB3_115:
	s_andn2_saveexec_b64 s[8:9], s[8:9]
	s_cbranch_execz .LBB3_117
; %bb.116:
	v_mov_b32_e32 v0, 0
	global_store_dword v0, v12, s[6:7]
.LBB3_117:
	s_or_b64 exec, exec, s[8:9]
.LBB3_118:
	s_or_b64 exec, exec, s[4:5]
                                        ; implicit-def: $vgpr4_vgpr5
                                        ; implicit-def: $vgpr0_vgpr1
                                        ; implicit-def: $vgpr14_vgpr15
.LBB3_119:
	s_andn2_saveexec_b64 s[2:3], s[2:3]
	s_cbranch_execz .LBB3_129
; %bb.120:
	v_cmp_lt_i64_e32 vcc, 7, v[0:1]
	s_and_saveexec_b64 s[4:5], vcc
	s_xor_b64 s[4:5], exec, s[4:5]
	s_cbranch_execz .LBB3_126
; %bb.121:
	v_cmp_lt_i64_e32 vcc, 8, v[0:1]
	s_and_saveexec_b64 s[8:9], vcc
	s_xor_b64 s[8:9], exec, s[8:9]
	s_cbranch_execz .LBB3_123
; %bb.122:
	v_mov_b32_e32 v0, 0
	global_store_dword v0, v15, s[6:7]
                                        ; implicit-def: $vgpr14_vgpr15
.LBB3_123:
	s_andn2_saveexec_b64 s[8:9], s[8:9]
	s_cbranch_execz .LBB3_125
; %bb.124:
	v_mov_b32_e32 v0, 0
	global_store_dword v0, v14, s[6:7]
.LBB3_125:
	s_or_b64 exec, exec, s[8:9]
                                        ; implicit-def: $vgpr4_vgpr5
.LBB3_126:
	s_andn2_saveexec_b64 s[4:5], s[4:5]
	s_cbranch_execz .LBB3_128
; %bb.127:
	v_mov_b32_e32 v0, 0
	global_store_dword v0, v5, s[6:7]
.LBB3_128:
	s_or_b64 exec, exec, s[4:5]
.LBB3_129:
	s_or_b64 exec, exec, s[2:3]
                                        ; implicit-def: $vgpr0_vgpr1
                                        ; implicit-def: $vgpr10_vgpr11
                                        ; implicit-def: $vgpr6_vgpr7
                                        ; implicit-def: $vgpr8_vgpr9
                                        ; implicit-def: $vgpr4_vgpr5
.LBB3_130:
	s_andn2_saveexec_b64 s[0:1], s[0:1]
	s_cbranch_execz .LBB3_153
; %bb.131:
	v_cmp_lt_i64_e32 vcc, 3, v[0:1]
	s_and_saveexec_b64 s[0:1], vcc
	s_xor_b64 s[0:1], exec, s[0:1]
	s_cbranch_execz .LBB3_141
; %bb.132:
	v_cmp_lt_i64_e32 vcc, 4, v[0:1]
	s_and_saveexec_b64 s[2:3], vcc
	s_xor_b64 s[2:3], exec, s[2:3]
	;; [unrolled: 5-line block ×3, first 2 shown]
	s_cbranch_execz .LBB3_135
; %bb.134:
	v_mov_b32_e32 v0, 0
	global_store_dword v0, v4, s[6:7]
                                        ; implicit-def: $vgpr10_vgpr11
.LBB3_135:
	s_andn2_saveexec_b64 s[4:5], s[4:5]
	s_cbranch_execz .LBB3_137
; %bb.136:
	v_mov_b32_e32 v0, 0
	global_store_dword v0, v11, s[6:7]
.LBB3_137:
	s_or_b64 exec, exec, s[4:5]
                                        ; implicit-def: $vgpr10_vgpr11
.LBB3_138:
	s_andn2_saveexec_b64 s[2:3], s[2:3]
	s_cbranch_execz .LBB3_140
; %bb.139:
	v_mov_b32_e32 v0, 0
	global_store_dword v0, v10, s[6:7]
.LBB3_140:
	s_or_b64 exec, exec, s[2:3]
                                        ; implicit-def: $vgpr0_vgpr1
                                        ; implicit-def: $vgpr6_vgpr7
                                        ; implicit-def: $vgpr8_vgpr9
.LBB3_141:
	s_andn2_saveexec_b64 s[0:1], s[0:1]
	s_cbranch_execz .LBB3_153
; %bb.142:
	v_cmp_lt_i64_e32 vcc, 1, v[0:1]
	s_and_saveexec_b64 s[0:1], vcc
	s_xor_b64 s[0:1], exec, s[0:1]
	s_cbranch_execz .LBB3_148
; %bb.143:
	v_cmp_lt_i64_e32 vcc, 2, v[0:1]
	s_and_saveexec_b64 s[2:3], vcc
	s_xor_b64 s[2:3], exec, s[2:3]
	s_cbranch_execz .LBB3_145
; %bb.144:
	v_mov_b32_e32 v0, 0
	global_store_dword v0, v9, s[6:7]
                                        ; implicit-def: $vgpr8_vgpr9
.LBB3_145:
	s_andn2_saveexec_b64 s[2:3], s[2:3]
	s_cbranch_execz .LBB3_147
; %bb.146:
	v_mov_b32_e32 v0, 0
	global_store_dword v0, v8, s[6:7]
.LBB3_147:
	s_or_b64 exec, exec, s[2:3]
                                        ; implicit-def: $vgpr6_vgpr7
                                        ; implicit-def: $vgpr0_vgpr1
.LBB3_148:
	s_andn2_saveexec_b64 s[0:1], s[0:1]
	s_cbranch_execz .LBB3_153
; %bb.149:
	v_cmp_ne_u64_e32 vcc, 1, v[0:1]
	s_and_saveexec_b64 s[0:1], vcc
	s_xor_b64 s[0:1], exec, s[0:1]
	s_cbranch_execz .LBB3_151
; %bb.150:
	v_mov_b32_e32 v0, 0
	global_store_dword v0, v6, s[6:7]
                                        ; implicit-def: $vgpr6_vgpr7
.LBB3_151:
	s_andn2_saveexec_b64 s[0:1], s[0:1]
	s_cbranch_execz .LBB3_153
; %bb.152:
	v_mov_b32_e32 v0, 0
	global_store_dword v0, v7, s[6:7]
.LBB3_153:
	s_endpgm
	.section	.rodata,"a",@progbits
	.p2align	6, 0x0
	.amdhsa_kernel _ZN7rocprim17ROCPRIM_304000_NS6detail20lookback_scan_kernelILNS1_25lookback_scan_determinismE0ELb0ENS1_19wrapped_scan_configINS0_14default_configEiEEPKiPiSt4plusIvEiiNS1_19lookback_scan_stateIiLb0ELb1EEEEEvT2_T3_mT5_T4_T7_jPT6_SK_bb
		.amdhsa_group_segment_fixed_size 14336
		.amdhsa_private_segment_fixed_size 0
		.amdhsa_kernarg_size 68
		.amdhsa_user_sgpr_count 2
		.amdhsa_user_sgpr_dispatch_ptr 0
		.amdhsa_user_sgpr_queue_ptr 0
		.amdhsa_user_sgpr_kernarg_segment_ptr 1
		.amdhsa_user_sgpr_dispatch_id 0
		.amdhsa_user_sgpr_kernarg_preload_length 0
		.amdhsa_user_sgpr_kernarg_preload_offset 0
		.amdhsa_user_sgpr_private_segment_size 0
		.amdhsa_uses_dynamic_stack 0
		.amdhsa_enable_private_segment 0
		.amdhsa_system_sgpr_workgroup_id_x 1
		.amdhsa_system_sgpr_workgroup_id_y 0
		.amdhsa_system_sgpr_workgroup_id_z 0
		.amdhsa_system_sgpr_workgroup_info 0
		.amdhsa_system_vgpr_workitem_id 0
		.amdhsa_next_free_vgpr 46
		.amdhsa_next_free_sgpr 30
		.amdhsa_accum_offset 48
		.amdhsa_reserve_vcc 1
		.amdhsa_float_round_mode_32 0
		.amdhsa_float_round_mode_16_64 0
		.amdhsa_float_denorm_mode_32 3
		.amdhsa_float_denorm_mode_16_64 3
		.amdhsa_dx10_clamp 1
		.amdhsa_ieee_mode 1
		.amdhsa_fp16_overflow 0
		.amdhsa_tg_split 0
		.amdhsa_exception_fp_ieee_invalid_op 0
		.amdhsa_exception_fp_denorm_src 0
		.amdhsa_exception_fp_ieee_div_zero 0
		.amdhsa_exception_fp_ieee_overflow 0
		.amdhsa_exception_fp_ieee_underflow 0
		.amdhsa_exception_fp_ieee_inexact 0
		.amdhsa_exception_int_div_zero 0
	.end_amdhsa_kernel
	.section	.text._ZN7rocprim17ROCPRIM_304000_NS6detail20lookback_scan_kernelILNS1_25lookback_scan_determinismE0ELb0ENS1_19wrapped_scan_configINS0_14default_configEiEEPKiPiSt4plusIvEiiNS1_19lookback_scan_stateIiLb0ELb1EEEEEvT2_T3_mT5_T4_T7_jPT6_SK_bb,"axG",@progbits,_ZN7rocprim17ROCPRIM_304000_NS6detail20lookback_scan_kernelILNS1_25lookback_scan_determinismE0ELb0ENS1_19wrapped_scan_configINS0_14default_configEiEEPKiPiSt4plusIvEiiNS1_19lookback_scan_stateIiLb0ELb1EEEEEvT2_T3_mT5_T4_T7_jPT6_SK_bb,comdat
.Lfunc_end3:
	.size	_ZN7rocprim17ROCPRIM_304000_NS6detail20lookback_scan_kernelILNS1_25lookback_scan_determinismE0ELb0ENS1_19wrapped_scan_configINS0_14default_configEiEEPKiPiSt4plusIvEiiNS1_19lookback_scan_stateIiLb0ELb1EEEEEvT2_T3_mT5_T4_T7_jPT6_SK_bb, .Lfunc_end3-_ZN7rocprim17ROCPRIM_304000_NS6detail20lookback_scan_kernelILNS1_25lookback_scan_determinismE0ELb0ENS1_19wrapped_scan_configINS0_14default_configEiEEPKiPiSt4plusIvEiiNS1_19lookback_scan_stateIiLb0ELb1EEEEEvT2_T3_mT5_T4_T7_jPT6_SK_bb
                                        ; -- End function
	.set _ZN7rocprim17ROCPRIM_304000_NS6detail20lookback_scan_kernelILNS1_25lookback_scan_determinismE0ELb0ENS1_19wrapped_scan_configINS0_14default_configEiEEPKiPiSt4plusIvEiiNS1_19lookback_scan_stateIiLb0ELb1EEEEEvT2_T3_mT5_T4_T7_jPT6_SK_bb.num_vgpr, 46
	.set _ZN7rocprim17ROCPRIM_304000_NS6detail20lookback_scan_kernelILNS1_25lookback_scan_determinismE0ELb0ENS1_19wrapped_scan_configINS0_14default_configEiEEPKiPiSt4plusIvEiiNS1_19lookback_scan_stateIiLb0ELb1EEEEEvT2_T3_mT5_T4_T7_jPT6_SK_bb.num_agpr, 0
	.set _ZN7rocprim17ROCPRIM_304000_NS6detail20lookback_scan_kernelILNS1_25lookback_scan_determinismE0ELb0ENS1_19wrapped_scan_configINS0_14default_configEiEEPKiPiSt4plusIvEiiNS1_19lookback_scan_stateIiLb0ELb1EEEEEvT2_T3_mT5_T4_T7_jPT6_SK_bb.numbered_sgpr, 30
	.set _ZN7rocprim17ROCPRIM_304000_NS6detail20lookback_scan_kernelILNS1_25lookback_scan_determinismE0ELb0ENS1_19wrapped_scan_configINS0_14default_configEiEEPKiPiSt4plusIvEiiNS1_19lookback_scan_stateIiLb0ELb1EEEEEvT2_T3_mT5_T4_T7_jPT6_SK_bb.num_named_barrier, 0
	.set _ZN7rocprim17ROCPRIM_304000_NS6detail20lookback_scan_kernelILNS1_25lookback_scan_determinismE0ELb0ENS1_19wrapped_scan_configINS0_14default_configEiEEPKiPiSt4plusIvEiiNS1_19lookback_scan_stateIiLb0ELb1EEEEEvT2_T3_mT5_T4_T7_jPT6_SK_bb.private_seg_size, 0
	.set _ZN7rocprim17ROCPRIM_304000_NS6detail20lookback_scan_kernelILNS1_25lookback_scan_determinismE0ELb0ENS1_19wrapped_scan_configINS0_14default_configEiEEPKiPiSt4plusIvEiiNS1_19lookback_scan_stateIiLb0ELb1EEEEEvT2_T3_mT5_T4_T7_jPT6_SK_bb.uses_vcc, 1
	.set _ZN7rocprim17ROCPRIM_304000_NS6detail20lookback_scan_kernelILNS1_25lookback_scan_determinismE0ELb0ENS1_19wrapped_scan_configINS0_14default_configEiEEPKiPiSt4plusIvEiiNS1_19lookback_scan_stateIiLb0ELb1EEEEEvT2_T3_mT5_T4_T7_jPT6_SK_bb.uses_flat_scratch, 0
	.set _ZN7rocprim17ROCPRIM_304000_NS6detail20lookback_scan_kernelILNS1_25lookback_scan_determinismE0ELb0ENS1_19wrapped_scan_configINS0_14default_configEiEEPKiPiSt4plusIvEiiNS1_19lookback_scan_stateIiLb0ELb1EEEEEvT2_T3_mT5_T4_T7_jPT6_SK_bb.has_dyn_sized_stack, 0
	.set _ZN7rocprim17ROCPRIM_304000_NS6detail20lookback_scan_kernelILNS1_25lookback_scan_determinismE0ELb0ENS1_19wrapped_scan_configINS0_14default_configEiEEPKiPiSt4plusIvEiiNS1_19lookback_scan_stateIiLb0ELb1EEEEEvT2_T3_mT5_T4_T7_jPT6_SK_bb.has_recursion, 0
	.set _ZN7rocprim17ROCPRIM_304000_NS6detail20lookback_scan_kernelILNS1_25lookback_scan_determinismE0ELb0ENS1_19wrapped_scan_configINS0_14default_configEiEEPKiPiSt4plusIvEiiNS1_19lookback_scan_stateIiLb0ELb1EEEEEvT2_T3_mT5_T4_T7_jPT6_SK_bb.has_indirect_call, 0
	.section	.AMDGPU.csdata,"",@progbits
; Kernel info:
; codeLenInByte = 5240
; TotalNumSgprs: 36
; NumVgprs: 46
; NumAgprs: 0
; TotalNumVgprs: 46
; ScratchSize: 0
; MemoryBound: 0
; FloatMode: 240
; IeeeMode: 1
; LDSByteSize: 14336 bytes/workgroup (compile time only)
; SGPRBlocks: 4
; VGPRBlocks: 5
; NumSGPRsForWavesPerEU: 36
; NumVGPRsForWavesPerEU: 46
; AccumOffset: 48
; Occupancy: 8
; WaveLimiterHint : 1
; COMPUTE_PGM_RSRC2:SCRATCH_EN: 0
; COMPUTE_PGM_RSRC2:USER_SGPR: 2
; COMPUTE_PGM_RSRC2:TRAP_HANDLER: 0
; COMPUTE_PGM_RSRC2:TGID_X_EN: 1
; COMPUTE_PGM_RSRC2:TGID_Y_EN: 0
; COMPUTE_PGM_RSRC2:TGID_Z_EN: 0
; COMPUTE_PGM_RSRC2:TIDIG_COMP_CNT: 0
; COMPUTE_PGM_RSRC3_GFX90A:ACCUM_OFFSET: 11
; COMPUTE_PGM_RSRC3_GFX90A:TG_SPLIT: 0
	.section	.text._ZN7rocprim17ROCPRIM_304000_NS6detail16transform_kernelINS1_24wrapped_transform_configINS0_14default_configEiEEiPiS6_NS0_8identityIiEEEEvT1_mT2_T3_,"axG",@progbits,_ZN7rocprim17ROCPRIM_304000_NS6detail16transform_kernelINS1_24wrapped_transform_configINS0_14default_configEiEEiPiS6_NS0_8identityIiEEEEvT1_mT2_T3_,comdat
	.protected	_ZN7rocprim17ROCPRIM_304000_NS6detail16transform_kernelINS1_24wrapped_transform_configINS0_14default_configEiEEiPiS6_NS0_8identityIiEEEEvT1_mT2_T3_ ; -- Begin function _ZN7rocprim17ROCPRIM_304000_NS6detail16transform_kernelINS1_24wrapped_transform_configINS0_14default_configEiEEiPiS6_NS0_8identityIiEEEEvT1_mT2_T3_
	.globl	_ZN7rocprim17ROCPRIM_304000_NS6detail16transform_kernelINS1_24wrapped_transform_configINS0_14default_configEiEEiPiS6_NS0_8identityIiEEEEvT1_mT2_T3_
	.p2align	8
	.type	_ZN7rocprim17ROCPRIM_304000_NS6detail16transform_kernelINS1_24wrapped_transform_configINS0_14default_configEiEEiPiS6_NS0_8identityIiEEEEvT1_mT2_T3_,@function
_ZN7rocprim17ROCPRIM_304000_NS6detail16transform_kernelINS1_24wrapped_transform_configINS0_14default_configEiEEiPiS6_NS0_8identityIiEEEEvT1_mT2_T3_: ; @_ZN7rocprim17ROCPRIM_304000_NS6detail16transform_kernelINS1_24wrapped_transform_configINS0_14default_configEiEEiPiS6_NS0_8identityIiEEEEvT1_mT2_T3_
; %bb.0:
	s_load_dword s3, s[0:1], 0x20
	s_load_dwordx4 s[4:7], s[0:1], 0x0
	s_load_dwordx2 s[8:9], s[0:1], 0x10
	s_lshl_b32 s0, s2, 8
	s_mov_b32 s1, 0
	s_waitcnt lgkmcnt(0)
	s_add_i32 s3, s3, -1
	s_lshl_b64 s[10:11], s[0:1], 2
	s_add_u32 s4, s4, s10
	s_addc_u32 s5, s5, s11
	v_mov_b32_e32 v3, 0
	v_lshlrev_b32_e32 v2, 2, v0
	s_cmp_lg_u32 s2, s3
	v_lshl_add_u64 v[4:5], s[4:5], 0, v[2:3]
	s_cbranch_scc0 .LBB4_2
; %bb.1:
	global_load_dword v3, v[4:5], off
	global_load_dword v1, v[4:5], off offset:512
	s_add_u32 s2, s8, s10
	s_addc_u32 s3, s9, s11
	s_waitcnt vmcnt(1)
	global_store_dword v2, v3, s[2:3]
	s_mov_b64 s[2:3], -1
	s_cbranch_execz .LBB4_3
	s_branch .LBB4_10
.LBB4_2:
	s_mov_b64 s[2:3], 0
                                        ; implicit-def: $vgpr1
.LBB4_3:
	s_sub_i32 s4, s6, s0
	v_mov_b32_e32 v6, 0
	v_cmp_gt_u32_e32 vcc, s4, v0
	v_mov_b32_e32 v7, v6
	s_and_saveexec_b64 s[0:1], vcc
	s_cbranch_execz .LBB4_5
; %bb.4:
	global_load_dword v8, v[4:5], off
	v_mov_b32_e32 v9, v6
	s_waitcnt vmcnt(0)
	v_mov_b64_e32 v[6:7], v[8:9]
.LBB4_5:
	s_or_b64 exec, exec, s[0:1]
	v_or_b32_e32 v0, 0x80, v0
	v_cmp_gt_u32_e64 s[0:1], s4, v0
	s_and_saveexec_b64 s[4:5], s[0:1]
	s_cbranch_execnz .LBB4_13
; %bb.6:
	s_or_b64 exec, exec, s[4:5]
	v_cndmask_b32_e32 v0, 0, v6, vcc
	s_and_saveexec_b64 s[4:5], vcc
	s_cbranch_execnz .LBB4_14
.LBB4_7:
	s_or_b64 exec, exec, s[4:5]
                                        ; implicit-def: $vgpr1
	s_and_saveexec_b64 s[4:5], s[0:1]
	s_cbranch_execz .LBB4_9
.LBB4_8:
	s_waitcnt vmcnt(0)
	v_cndmask_b32_e64 v1, 0, v7, s[0:1]
	s_or_b64 s[2:3], s[2:3], exec
.LBB4_9:
	s_or_b64 exec, exec, s[4:5]
.LBB4_10:
	s_and_saveexec_b64 s[0:1], s[2:3]
	s_cbranch_execnz .LBB4_12
; %bb.11:
	s_endpgm
.LBB4_12:
	s_add_u32 s0, s8, s10
	s_addc_u32 s1, s9, s11
	s_waitcnt vmcnt(1)
	global_store_dword v2, v1, s[0:1] offset:512
	s_endpgm
.LBB4_13:
	global_load_dword v7, v[4:5], off offset:512
	s_or_b64 exec, exec, s[4:5]
	v_cndmask_b32_e32 v0, 0, v6, vcc
	s_and_saveexec_b64 s[4:5], vcc
	s_cbranch_execz .LBB4_7
.LBB4_14:
	s_add_u32 s6, s8, s10
	s_addc_u32 s7, s9, s11
	global_store_dword v2, v0, s[6:7]
	s_or_b64 exec, exec, s[4:5]
                                        ; implicit-def: $vgpr1
	s_and_saveexec_b64 s[4:5], s[0:1]
	s_cbranch_execnz .LBB4_8
	s_branch .LBB4_9
	.section	.rodata,"a",@progbits
	.p2align	6, 0x0
	.amdhsa_kernel _ZN7rocprim17ROCPRIM_304000_NS6detail16transform_kernelINS1_24wrapped_transform_configINS0_14default_configEiEEiPiS6_NS0_8identityIiEEEEvT1_mT2_T3_
		.amdhsa_group_segment_fixed_size 0
		.amdhsa_private_segment_fixed_size 0
		.amdhsa_kernarg_size 288
		.amdhsa_user_sgpr_count 2
		.amdhsa_user_sgpr_dispatch_ptr 0
		.amdhsa_user_sgpr_queue_ptr 0
		.amdhsa_user_sgpr_kernarg_segment_ptr 1
		.amdhsa_user_sgpr_dispatch_id 0
		.amdhsa_user_sgpr_kernarg_preload_length 0
		.amdhsa_user_sgpr_kernarg_preload_offset 0
		.amdhsa_user_sgpr_private_segment_size 0
		.amdhsa_uses_dynamic_stack 0
		.amdhsa_enable_private_segment 0
		.amdhsa_system_sgpr_workgroup_id_x 1
		.amdhsa_system_sgpr_workgroup_id_y 0
		.amdhsa_system_sgpr_workgroup_id_z 0
		.amdhsa_system_sgpr_workgroup_info 0
		.amdhsa_system_vgpr_workitem_id 0
		.amdhsa_next_free_vgpr 10
		.amdhsa_next_free_sgpr 12
		.amdhsa_accum_offset 12
		.amdhsa_reserve_vcc 1
		.amdhsa_float_round_mode_32 0
		.amdhsa_float_round_mode_16_64 0
		.amdhsa_float_denorm_mode_32 3
		.amdhsa_float_denorm_mode_16_64 3
		.amdhsa_dx10_clamp 1
		.amdhsa_ieee_mode 1
		.amdhsa_fp16_overflow 0
		.amdhsa_tg_split 0
		.amdhsa_exception_fp_ieee_invalid_op 0
		.amdhsa_exception_fp_denorm_src 0
		.amdhsa_exception_fp_ieee_div_zero 0
		.amdhsa_exception_fp_ieee_overflow 0
		.amdhsa_exception_fp_ieee_underflow 0
		.amdhsa_exception_fp_ieee_inexact 0
		.amdhsa_exception_int_div_zero 0
	.end_amdhsa_kernel
	.section	.text._ZN7rocprim17ROCPRIM_304000_NS6detail16transform_kernelINS1_24wrapped_transform_configINS0_14default_configEiEEiPiS6_NS0_8identityIiEEEEvT1_mT2_T3_,"axG",@progbits,_ZN7rocprim17ROCPRIM_304000_NS6detail16transform_kernelINS1_24wrapped_transform_configINS0_14default_configEiEEiPiS6_NS0_8identityIiEEEEvT1_mT2_T3_,comdat
.Lfunc_end4:
	.size	_ZN7rocprim17ROCPRIM_304000_NS6detail16transform_kernelINS1_24wrapped_transform_configINS0_14default_configEiEEiPiS6_NS0_8identityIiEEEEvT1_mT2_T3_, .Lfunc_end4-_ZN7rocprim17ROCPRIM_304000_NS6detail16transform_kernelINS1_24wrapped_transform_configINS0_14default_configEiEEiPiS6_NS0_8identityIiEEEEvT1_mT2_T3_
                                        ; -- End function
	.set _ZN7rocprim17ROCPRIM_304000_NS6detail16transform_kernelINS1_24wrapped_transform_configINS0_14default_configEiEEiPiS6_NS0_8identityIiEEEEvT1_mT2_T3_.num_vgpr, 10
	.set _ZN7rocprim17ROCPRIM_304000_NS6detail16transform_kernelINS1_24wrapped_transform_configINS0_14default_configEiEEiPiS6_NS0_8identityIiEEEEvT1_mT2_T3_.num_agpr, 0
	.set _ZN7rocprim17ROCPRIM_304000_NS6detail16transform_kernelINS1_24wrapped_transform_configINS0_14default_configEiEEiPiS6_NS0_8identityIiEEEEvT1_mT2_T3_.numbered_sgpr, 12
	.set _ZN7rocprim17ROCPRIM_304000_NS6detail16transform_kernelINS1_24wrapped_transform_configINS0_14default_configEiEEiPiS6_NS0_8identityIiEEEEvT1_mT2_T3_.num_named_barrier, 0
	.set _ZN7rocprim17ROCPRIM_304000_NS6detail16transform_kernelINS1_24wrapped_transform_configINS0_14default_configEiEEiPiS6_NS0_8identityIiEEEEvT1_mT2_T3_.private_seg_size, 0
	.set _ZN7rocprim17ROCPRIM_304000_NS6detail16transform_kernelINS1_24wrapped_transform_configINS0_14default_configEiEEiPiS6_NS0_8identityIiEEEEvT1_mT2_T3_.uses_vcc, 1
	.set _ZN7rocprim17ROCPRIM_304000_NS6detail16transform_kernelINS1_24wrapped_transform_configINS0_14default_configEiEEiPiS6_NS0_8identityIiEEEEvT1_mT2_T3_.uses_flat_scratch, 0
	.set _ZN7rocprim17ROCPRIM_304000_NS6detail16transform_kernelINS1_24wrapped_transform_configINS0_14default_configEiEEiPiS6_NS0_8identityIiEEEEvT1_mT2_T3_.has_dyn_sized_stack, 0
	.set _ZN7rocprim17ROCPRIM_304000_NS6detail16transform_kernelINS1_24wrapped_transform_configINS0_14default_configEiEEiPiS6_NS0_8identityIiEEEEvT1_mT2_T3_.has_recursion, 0
	.set _ZN7rocprim17ROCPRIM_304000_NS6detail16transform_kernelINS1_24wrapped_transform_configINS0_14default_configEiEEiPiS6_NS0_8identityIiEEEEvT1_mT2_T3_.has_indirect_call, 0
	.section	.AMDGPU.csdata,"",@progbits
; Kernel info:
; codeLenInByte = 340
; TotalNumSgprs: 18
; NumVgprs: 10
; NumAgprs: 0
; TotalNumVgprs: 10
; ScratchSize: 0
; MemoryBound: 0
; FloatMode: 240
; IeeeMode: 1
; LDSByteSize: 0 bytes/workgroup (compile time only)
; SGPRBlocks: 2
; VGPRBlocks: 1
; NumSGPRsForWavesPerEU: 18
; NumVGPRsForWavesPerEU: 10
; AccumOffset: 12
; Occupancy: 8
; WaveLimiterHint : 1
; COMPUTE_PGM_RSRC2:SCRATCH_EN: 0
; COMPUTE_PGM_RSRC2:USER_SGPR: 2
; COMPUTE_PGM_RSRC2:TRAP_HANDLER: 0
; COMPUTE_PGM_RSRC2:TGID_X_EN: 1
; COMPUTE_PGM_RSRC2:TGID_Y_EN: 0
; COMPUTE_PGM_RSRC2:TGID_Z_EN: 0
; COMPUTE_PGM_RSRC2:TIDIG_COMP_CNT: 0
; COMPUTE_PGM_RSRC3_GFX90A:ACCUM_OFFSET: 2
; COMPUTE_PGM_RSRC3_GFX90A:TG_SPLIT: 0
	.section	.text._ZN7rocprim17ROCPRIM_304000_NS6detail18single_scan_kernelILb0ENS1_19wrapped_scan_configINS0_14default_configEiEEPKiPiSt4plusIvEiiEEvT1_mT4_T2_T3_,"axG",@progbits,_ZN7rocprim17ROCPRIM_304000_NS6detail18single_scan_kernelILb0ENS1_19wrapped_scan_configINS0_14default_configEiEEPKiPiSt4plusIvEiiEEvT1_mT4_T2_T3_,comdat
	.protected	_ZN7rocprim17ROCPRIM_304000_NS6detail18single_scan_kernelILb0ENS1_19wrapped_scan_configINS0_14default_configEiEEPKiPiSt4plusIvEiiEEvT1_mT4_T2_T3_ ; -- Begin function _ZN7rocprim17ROCPRIM_304000_NS6detail18single_scan_kernelILb0ENS1_19wrapped_scan_configINS0_14default_configEiEEPKiPiSt4plusIvEiiEEvT1_mT4_T2_T3_
	.globl	_ZN7rocprim17ROCPRIM_304000_NS6detail18single_scan_kernelILb0ENS1_19wrapped_scan_configINS0_14default_configEiEEPKiPiSt4plusIvEiiEEvT1_mT4_T2_T3_
	.p2align	8
	.type	_ZN7rocprim17ROCPRIM_304000_NS6detail18single_scan_kernelILb0ENS1_19wrapped_scan_configINS0_14default_configEiEEPKiPiSt4plusIvEiiEEvT1_mT4_T2_T3_,@function
_ZN7rocprim17ROCPRIM_304000_NS6detail18single_scan_kernelILb0ENS1_19wrapped_scan_configINS0_14default_configEiEEPKiPiSt4plusIvEiiEEvT1_mT4_T2_T3_: ; @_ZN7rocprim17ROCPRIM_304000_NS6detail18single_scan_kernelILb0ENS1_19wrapped_scan_configINS0_14default_configEiEEPKiPiSt4plusIvEiiEEvT1_mT4_T2_T3_
; %bb.0:
	s_load_dwordx4 s[28:31], s[0:1], 0x0
	v_mov_b32_e32 v19, 0
	v_lshlrev_b32_e32 v18, 2, v0
	s_waitcnt lgkmcnt(0)
	s_load_dword s4, s[28:29], 0x0
	v_lshl_add_u64 v[20:21], s[28:29], 0, v[18:19]
	v_cmp_gt_u32_e64 s[2:3], s30, v0
	s_waitcnt lgkmcnt(0)
	s_mov_b32 s5, s4
	s_mov_b32 s6, s4
	;; [unrolled: 1-line block ×13, first 2 shown]
	v_mov_b64_e32 v[2:3], s[4:5]
	v_mov_b64_e32 v[4:5], s[6:7]
	;; [unrolled: 1-line block ×7, first 2 shown]
	v_mov_b32_e32 v1, s4
	v_mov_b64_e32 v[16:17], s[18:19]
	s_and_saveexec_b64 s[6:7], s[2:3]
	s_cbranch_execz .LBB5_2
; %bb.1:
	global_load_dword v1, v[20:21], off
	v_mov_b32_e32 v3, s4
	v_mov_b32_e32 v4, s4
	;; [unrolled: 1-line block ×13, first 2 shown]
.LBB5_2:
	s_or_b64 exec, exec, s[6:7]
	v_or_b32_e32 v2, 0x100, v0
	v_cmp_gt_u32_e64 s[4:5], s30, v2
	s_and_saveexec_b64 s[6:7], s[4:5]
	s_cbranch_execz .LBB5_4
; %bb.3:
	global_load_dword v3, v[20:21], off offset:1024
.LBB5_4:
	s_or_b64 exec, exec, s[6:7]
	v_or_b32_e32 v2, 0x200, v0
	v_cmp_gt_u32_e64 s[6:7], s30, v2
	s_and_saveexec_b64 s[8:9], s[6:7]
	s_cbranch_execz .LBB5_6
; %bb.5:
	global_load_dword v4, v[20:21], off offset:2048
.LBB5_6:
	;; [unrolled: 8-line block ×3, first 2 shown]
	s_or_b64 exec, exec, s[10:11]
	v_or_b32_e32 v2, 0x400, v0
	v_cmp_gt_u32_e64 s[10:11], s30, v2
	s_and_saveexec_b64 s[12:13], s[10:11]
	s_cbranch_execz .LBB5_10
; %bb.9:
	v_add_co_u32_e32 v16, vcc, 0x1000, v20
	s_nop 1
	v_addc_co_u32_e32 v17, vcc, 0, v21, vcc
	global_load_dword v6, v[16:17], off
.LBB5_10:
	s_or_b64 exec, exec, s[12:13]
	v_or_b32_e32 v2, 0x500, v0
	v_cmp_gt_u32_e64 s[12:13], s30, v2
	s_and_saveexec_b64 s[14:15], s[12:13]
	s_cbranch_execz .LBB5_12
; %bb.11:
	v_add_co_u32_e32 v16, vcc, 0x1000, v20
	s_nop 1
	v_addc_co_u32_e32 v17, vcc, 0, v21, vcc
	global_load_dword v7, v[16:17], off offset:1024
.LBB5_12:
	s_or_b64 exec, exec, s[14:15]
	v_or_b32_e32 v2, 0x600, v0
	v_cmp_gt_u32_e64 s[14:15], s30, v2
	s_and_saveexec_b64 s[16:17], s[14:15]
	s_cbranch_execz .LBB5_14
; %bb.13:
	v_add_co_u32_e32 v16, vcc, 0x1000, v20
	s_nop 1
	v_addc_co_u32_e32 v17, vcc, 0, v21, vcc
	global_load_dword v8, v[16:17], off offset:2048
.LBB5_14:
	;; [unrolled: 11-line block ×3, first 2 shown]
	s_or_b64 exec, exec, s[18:19]
	v_or_b32_e32 v2, 0x800, v0
	v_cmp_gt_u32_e64 s[18:19], s30, v2
	s_and_saveexec_b64 s[20:21], s[18:19]
	s_cbranch_execz .LBB5_18
; %bb.17:
	v_add_co_u32_e32 v16, vcc, 0x2000, v20
	s_nop 1
	v_addc_co_u32_e32 v17, vcc, 0, v21, vcc
	global_load_dword v10, v[16:17], off
.LBB5_18:
	s_or_b64 exec, exec, s[20:21]
	v_or_b32_e32 v2, 0x900, v0
	v_cmp_gt_u32_e64 s[20:21], s30, v2
	s_and_saveexec_b64 s[22:23], s[20:21]
	s_cbranch_execz .LBB5_20
; %bb.19:
	v_add_co_u32_e32 v16, vcc, 0x2000, v20
	s_nop 1
	v_addc_co_u32_e32 v17, vcc, 0, v21, vcc
	global_load_dword v11, v[16:17], off offset:1024
.LBB5_20:
	s_or_b64 exec, exec, s[22:23]
	v_or_b32_e32 v2, 0xa00, v0
	v_cmp_gt_u32_e64 s[22:23], s30, v2
	s_and_saveexec_b64 s[24:25], s[22:23]
	s_cbranch_execz .LBB5_22
; %bb.21:
	v_add_co_u32_e32 v16, vcc, 0x2000, v20
	s_nop 1
	v_addc_co_u32_e32 v17, vcc, 0, v21, vcc
	global_load_dword v12, v[16:17], off offset:2048
.LBB5_22:
	;; [unrolled: 11-line block ×3, first 2 shown]
	s_or_b64 exec, exec, s[26:27]
	v_or_b32_e32 v2, 0xc00, v0
	v_cmp_gt_u32_e64 s[26:27], s30, v2
	s_and_saveexec_b64 s[28:29], s[26:27]
	s_cbranch_execz .LBB5_26
; %bb.25:
	v_add_co_u32_e32 v16, vcc, 0x3000, v20
	s_nop 1
	v_addc_co_u32_e32 v17, vcc, 0, v21, vcc
	global_load_dword v14, v[16:17], off
.LBB5_26:
	s_or_b64 exec, exec, s[28:29]
	v_or_b32_e32 v2, 0xd00, v0
	v_cmp_gt_u32_e64 s[28:29], s30, v2
	s_and_saveexec_b64 s[30:31], s[28:29]
	s_cbranch_execz .LBB5_28
; %bb.27:
	v_add_co_u32_e32 v16, vcc, 0x3000, v20
	s_nop 1
	v_addc_co_u32_e32 v17, vcc, 0, v21, vcc
	global_load_dword v15, v[16:17], off offset:1024
.LBB5_28:
	s_or_b64 exec, exec, s[30:31]
	s_waitcnt vmcnt(0)
	ds_write2st64_b32 v18, v1, v3 offset1:4
	ds_write2st64_b32 v18, v4, v5 offset0:8 offset1:12
	ds_write2st64_b32 v18, v6, v7 offset0:16 offset1:20
	;; [unrolled: 1-line block ×6, first 2 shown]
	v_mad_u32_u24 v1, v0, 52, v18
	s_waitcnt lgkmcnt(0)
	s_barrier
	ds_read2_b64 v[10:13], v1 offset1:1
	ds_read2_b64 v[6:9], v1 offset0:2 offset1:3
	ds_read2_b64 v[2:5], v1 offset0:4 offset1:5
	ds_read_b64 v[14:15], v1 offset:48
	s_waitcnt lgkmcnt(0)
	v_add_u32_e32 v1, v11, v10
	v_add3_u32 v1, v1, v12, v13
	v_add3_u32 v1, v1, v6, v7
	v_add3_u32 v1, v1, v8, v9
	v_add3_u32 v1, v1, v2, v3
	v_add3_u32 v1, v1, v4, v5
	v_add3_u32 v16, v1, v14, v15
	v_mbcnt_lo_u32_b32 v1, -1, 0
	v_mbcnt_hi_u32_b32 v1, -1, v1
	v_and_b32_e32 v17, 15, v1
	v_mov_b32_dpp v19, v16 row_shr:1 row_mask:0xf bank_mask:0xf
	v_cmp_ne_u32_e32 vcc, 0, v17
	s_barrier
	s_nop 0
	v_cndmask_b32_e32 v19, 0, v19, vcc
	v_add_u32_e32 v16, v19, v16
	v_cmp_lt_u32_e32 vcc, 1, v17
	s_nop 0
	v_mov_b32_dpp v19, v16 row_shr:2 row_mask:0xf bank_mask:0xf
	v_cndmask_b32_e32 v19, 0, v19, vcc
	v_add_u32_e32 v16, v16, v19
	v_cmp_lt_u32_e32 vcc, 3, v17
	s_nop 0
	v_mov_b32_dpp v19, v16 row_shr:4 row_mask:0xf bank_mask:0xf
	;; [unrolled: 5-line block ×3, first 2 shown]
	v_cndmask_b32_e32 v17, 0, v19, vcc
	v_add_u32_e32 v16, v16, v17
	v_bfe_i32 v19, v1, 4, 1
	v_cmp_lt_u32_e32 vcc, 31, v1
	v_mov_b32_dpp v17, v16 row_bcast:15 row_mask:0xf bank_mask:0xf
	v_and_b32_e32 v17, v19, v17
	v_add_u32_e32 v16, v16, v17
	v_lshrrev_b32_e32 v19, 6, v0
	s_nop 0
	v_mov_b32_dpp v17, v16 row_bcast:31 row_mask:0xf bank_mask:0xf
	v_cndmask_b32_e32 v17, 0, v17, vcc
	v_add_u32_e32 v16, v16, v17
	v_or_b32_e32 v17, 63, v0
	v_cmp_eq_u32_e32 vcc, v0, v17
	s_and_saveexec_b64 s[30:31], vcc
; %bb.29:
	v_lshlrev_b32_e32 v17, 2, v19
	ds_write_b32 v17, v16
; %bb.30:
	s_or_b64 exec, exec, s[30:31]
	v_cmp_gt_u32_e32 vcc, 4, v0
	s_waitcnt lgkmcnt(0)
	s_barrier
	s_and_saveexec_b64 s[30:31], vcc
	s_cbranch_execz .LBB5_32
; %bb.31:
	ds_read_b32 v17, v18
	v_and_b32_e32 v20, 3, v1
	v_cmp_ne_u32_e32 vcc, 0, v20
	s_waitcnt lgkmcnt(0)
	v_mov_b32_dpp v21, v17 row_shr:1 row_mask:0xf bank_mask:0xf
	v_cndmask_b32_e32 v21, 0, v21, vcc
	v_add_u32_e32 v17, v21, v17
	v_cmp_lt_u32_e32 vcc, 1, v20
	s_nop 0
	v_mov_b32_dpp v21, v17 row_shr:2 row_mask:0xf bank_mask:0xf
	v_cndmask_b32_e32 v20, 0, v21, vcc
	v_add_u32_e32 v17, v17, v20
	ds_write_b32 v18, v17
.LBB5_32:
	s_or_b64 exec, exec, s[30:31]
	v_mul_u32_u24_e32 v17, 52, v0
	v_cmp_lt_u32_e32 vcc, 63, v0
	s_waitcnt lgkmcnt(0)
	s_barrier
                                        ; implicit-def: $vgpr20
	s_and_saveexec_b64 s[30:31], vcc
	s_cbranch_execz .LBB5_34
; %bb.33:
	v_lshl_add_u32 v19, v19, 2, -4
	ds_read_b32 v20, v19
	s_waitcnt lgkmcnt(0)
	v_add_u32_e32 v16, v20, v16
.LBB5_34:
	s_or_b64 exec, exec, s[30:31]
	v_subrev_co_u32_e32 v19, vcc, 1, v1
	v_and_b32_e32 v21, 64, v1
	v_cmp_lt_i32_e64 s[30:31], v19, v21
	s_barrier
	s_nop 0
	v_cndmask_b32_e64 v1, v19, v1, s[30:31]
	v_lshlrev_b32_e32 v1, 2, v1
	ds_bpermute_b32 v1, v1, v16
	s_waitcnt lgkmcnt(0)
	s_load_dwordx2 s[0:1], s[0:1], 0x18
	v_mov_b32_e32 v19, 0
	v_cndmask_b32_e32 v1, v1, v20, vcc
	v_cmp_ne_u32_e32 vcc, 0, v0
	s_nop 1
	v_cndmask_b32_e32 v0, 0, v1, vcc
	v_add_u32_e32 v0, v0, v10
	v_add_u32_e32 v1, v0, v11
	;; [unrolled: 1-line block ×15, first 2 shown]
	ds_write2_b64 v14, v[0:1], v[10:11] offset1:1
	ds_write2_b64 v14, v[6:7], v[8:9] offset0:2 offset1:3
	ds_write2_b64 v14, v[2:3], v[4:5] offset0:4 offset1:5
	ds_write_b64 v14, v[12:13] offset:48
	s_waitcnt lgkmcnt(0)
	s_barrier
	ds_read2st64_b32 v[12:13], v18 offset0:4 offset1:8
	ds_read2st64_b32 v[10:11], v18 offset0:12 offset1:16
	;; [unrolled: 1-line block ×6, first 2 shown]
	ds_read_b32 v14, v18 offset:13312
	v_lshl_add_u64 v[0:1], s[0:1], 0, v[18:19]
	s_and_saveexec_b64 s[0:1], s[2:3]
	s_cbranch_execnz .LBB5_49
; %bb.35:
	s_or_b64 exec, exec, s[0:1]
	s_and_saveexec_b64 s[0:1], s[4:5]
	s_cbranch_execnz .LBB5_50
.LBB5_36:
	s_or_b64 exec, exec, s[0:1]
	s_and_saveexec_b64 s[0:1], s[6:7]
	s_cbranch_execnz .LBB5_51
.LBB5_37:
	s_or_b64 exec, exec, s[0:1]
	s_and_saveexec_b64 s[0:1], s[8:9]
	s_cbranch_execnz .LBB5_52
.LBB5_38:
	s_or_b64 exec, exec, s[0:1]
	s_and_saveexec_b64 s[0:1], s[10:11]
	s_cbranch_execnz .LBB5_53
.LBB5_39:
	s_or_b64 exec, exec, s[0:1]
	s_and_saveexec_b64 s[0:1], s[12:13]
	s_cbranch_execnz .LBB5_54
.LBB5_40:
	s_or_b64 exec, exec, s[0:1]
	s_and_saveexec_b64 s[0:1], s[14:15]
	s_cbranch_execnz .LBB5_55
.LBB5_41:
	s_or_b64 exec, exec, s[0:1]
	s_and_saveexec_b64 s[0:1], s[16:17]
	s_cbranch_execnz .LBB5_56
.LBB5_42:
	s_or_b64 exec, exec, s[0:1]
	s_and_saveexec_b64 s[0:1], s[18:19]
	s_cbranch_execnz .LBB5_57
.LBB5_43:
	s_or_b64 exec, exec, s[0:1]
	s_and_saveexec_b64 s[0:1], s[20:21]
	s_cbranch_execnz .LBB5_58
.LBB5_44:
	s_or_b64 exec, exec, s[0:1]
	s_and_saveexec_b64 s[0:1], s[22:23]
	s_cbranch_execnz .LBB5_59
.LBB5_45:
	s_or_b64 exec, exec, s[0:1]
	s_and_saveexec_b64 s[0:1], s[24:25]
	s_cbranch_execnz .LBB5_60
.LBB5_46:
	s_or_b64 exec, exec, s[0:1]
	s_and_saveexec_b64 s[0:1], s[26:27]
	s_cbranch_execnz .LBB5_61
.LBB5_47:
	s_or_b64 exec, exec, s[0:1]
	s_and_saveexec_b64 s[0:1], s[28:29]
	s_cbranch_execnz .LBB5_62
.LBB5_48:
	s_endpgm
.LBB5_49:
	ds_read_b32 v15, v18
	s_waitcnt lgkmcnt(0)
	global_store_dword v[0:1], v15, off
	s_or_b64 exec, exec, s[0:1]
	s_and_saveexec_b64 s[0:1], s[4:5]
	s_cbranch_execz .LBB5_36
.LBB5_50:
	s_waitcnt lgkmcnt(6)
	global_store_dword v[0:1], v12, off offset:1024
	s_or_b64 exec, exec, s[0:1]
	s_and_saveexec_b64 s[0:1], s[6:7]
	s_cbranch_execz .LBB5_37
.LBB5_51:
	s_waitcnt lgkmcnt(6)
	global_store_dword v[0:1], v13, off offset:2048
	s_or_b64 exec, exec, s[0:1]
	s_and_saveexec_b64 s[0:1], s[8:9]
	s_cbranch_execz .LBB5_38
.LBB5_52:
	s_waitcnt lgkmcnt(5)
	global_store_dword v[0:1], v10, off offset:3072
	s_or_b64 exec, exec, s[0:1]
	s_and_saveexec_b64 s[0:1], s[10:11]
	s_cbranch_execz .LBB5_39
.LBB5_53:
	s_waitcnt lgkmcnt(6)
	v_add_co_u32_e32 v12, vcc, 0x1000, v0
	s_nop 1
	v_addc_co_u32_e32 v13, vcc, 0, v1, vcc
	s_waitcnt lgkmcnt(5)
	global_store_dword v[12:13], v11, off
	s_or_b64 exec, exec, s[0:1]
	s_and_saveexec_b64 s[0:1], s[12:13]
	s_cbranch_execz .LBB5_40
.LBB5_54:
	s_waitcnt lgkmcnt(5)
	v_add_co_u32_e32 v10, vcc, 0x1000, v0
	s_nop 1
	v_addc_co_u32_e32 v11, vcc, 0, v1, vcc
	s_waitcnt lgkmcnt(4)
	global_store_dword v[10:11], v8, off offset:1024
	s_or_b64 exec, exec, s[0:1]
	s_and_saveexec_b64 s[0:1], s[14:15]
	s_cbranch_execz .LBB5_41
.LBB5_55:
	s_waitcnt lgkmcnt(5)
	v_add_co_u32_e32 v10, vcc, 0x1000, v0
	s_nop 1
	v_addc_co_u32_e32 v11, vcc, 0, v1, vcc
	s_waitcnt lgkmcnt(4)
	global_store_dword v[10:11], v9, off offset:2048
	s_or_b64 exec, exec, s[0:1]
	s_and_saveexec_b64 s[0:1], s[16:17]
	s_cbranch_execz .LBB5_42
.LBB5_56:
	s_waitcnt lgkmcnt(4)
	v_add_co_u32_e32 v8, vcc, 0x1000, v0
	s_nop 1
	v_addc_co_u32_e32 v9, vcc, 0, v1, vcc
	s_waitcnt lgkmcnt(3)
	global_store_dword v[8:9], v6, off offset:3072
	s_or_b64 exec, exec, s[0:1]
	s_and_saveexec_b64 s[0:1], s[18:19]
	s_cbranch_execz .LBB5_43
.LBB5_57:
	s_waitcnt lgkmcnt(4)
	v_add_co_u32_e32 v8, vcc, 0x2000, v0
	s_nop 1
	v_addc_co_u32_e32 v9, vcc, 0, v1, vcc
	s_waitcnt lgkmcnt(3)
	global_store_dword v[8:9], v7, off
	s_or_b64 exec, exec, s[0:1]
	s_and_saveexec_b64 s[0:1], s[20:21]
	s_cbranch_execz .LBB5_44
.LBB5_58:
	s_waitcnt lgkmcnt(3)
	v_add_co_u32_e32 v6, vcc, 0x2000, v0
	s_nop 1
	v_addc_co_u32_e32 v7, vcc, 0, v1, vcc
	s_waitcnt lgkmcnt(2)
	global_store_dword v[6:7], v4, off offset:1024
	s_or_b64 exec, exec, s[0:1]
	s_and_saveexec_b64 s[0:1], s[22:23]
	s_cbranch_execz .LBB5_45
.LBB5_59:
	s_waitcnt lgkmcnt(3)
	v_add_co_u32_e32 v6, vcc, 0x2000, v0
	s_nop 1
	v_addc_co_u32_e32 v7, vcc, 0, v1, vcc
	s_waitcnt lgkmcnt(2)
	global_store_dword v[6:7], v5, off offset:2048
	s_or_b64 exec, exec, s[0:1]
	s_and_saveexec_b64 s[0:1], s[24:25]
	s_cbranch_execz .LBB5_46
.LBB5_60:
	s_waitcnt lgkmcnt(2)
	v_add_co_u32_e32 v4, vcc, 0x2000, v0
	s_nop 1
	v_addc_co_u32_e32 v5, vcc, 0, v1, vcc
	s_waitcnt lgkmcnt(1)
	global_store_dword v[4:5], v2, off offset:3072
	s_or_b64 exec, exec, s[0:1]
	s_and_saveexec_b64 s[0:1], s[26:27]
	s_cbranch_execz .LBB5_47
.LBB5_61:
	s_waitcnt lgkmcnt(2)
	v_add_co_u32_e32 v4, vcc, 0x3000, v0
	s_nop 1
	v_addc_co_u32_e32 v5, vcc, 0, v1, vcc
	s_waitcnt lgkmcnt(1)
	global_store_dword v[4:5], v3, off
	s_or_b64 exec, exec, s[0:1]
	s_and_saveexec_b64 s[0:1], s[28:29]
	s_cbranch_execz .LBB5_48
.LBB5_62:
	v_add_co_u32_e32 v0, vcc, 0x3000, v0
	s_nop 1
	v_addc_co_u32_e32 v1, vcc, 0, v1, vcc
	s_waitcnt lgkmcnt(0)
	global_store_dword v[0:1], v14, off offset:1024
	s_endpgm
	.section	.rodata,"a",@progbits
	.p2align	6, 0x0
	.amdhsa_kernel _ZN7rocprim17ROCPRIM_304000_NS6detail18single_scan_kernelILb0ENS1_19wrapped_scan_configINS0_14default_configEiEEPKiPiSt4plusIvEiiEEvT1_mT4_T2_T3_
		.amdhsa_group_segment_fixed_size 14336
		.amdhsa_private_segment_fixed_size 0
		.amdhsa_kernarg_size 36
		.amdhsa_user_sgpr_count 2
		.amdhsa_user_sgpr_dispatch_ptr 0
		.amdhsa_user_sgpr_queue_ptr 0
		.amdhsa_user_sgpr_kernarg_segment_ptr 1
		.amdhsa_user_sgpr_dispatch_id 0
		.amdhsa_user_sgpr_kernarg_preload_length 0
		.amdhsa_user_sgpr_kernarg_preload_offset 0
		.amdhsa_user_sgpr_private_segment_size 0
		.amdhsa_uses_dynamic_stack 0
		.amdhsa_enable_private_segment 0
		.amdhsa_system_sgpr_workgroup_id_x 1
		.amdhsa_system_sgpr_workgroup_id_y 0
		.amdhsa_system_sgpr_workgroup_id_z 0
		.amdhsa_system_sgpr_workgroup_info 0
		.amdhsa_system_vgpr_workitem_id 0
		.amdhsa_next_free_vgpr 22
		.amdhsa_next_free_sgpr 32
		.amdhsa_accum_offset 24
		.amdhsa_reserve_vcc 1
		.amdhsa_float_round_mode_32 0
		.amdhsa_float_round_mode_16_64 0
		.amdhsa_float_denorm_mode_32 3
		.amdhsa_float_denorm_mode_16_64 3
		.amdhsa_dx10_clamp 1
		.amdhsa_ieee_mode 1
		.amdhsa_fp16_overflow 0
		.amdhsa_tg_split 0
		.amdhsa_exception_fp_ieee_invalid_op 0
		.amdhsa_exception_fp_denorm_src 0
		.amdhsa_exception_fp_ieee_div_zero 0
		.amdhsa_exception_fp_ieee_overflow 0
		.amdhsa_exception_fp_ieee_underflow 0
		.amdhsa_exception_fp_ieee_inexact 0
		.amdhsa_exception_int_div_zero 0
	.end_amdhsa_kernel
	.section	.text._ZN7rocprim17ROCPRIM_304000_NS6detail18single_scan_kernelILb0ENS1_19wrapped_scan_configINS0_14default_configEiEEPKiPiSt4plusIvEiiEEvT1_mT4_T2_T3_,"axG",@progbits,_ZN7rocprim17ROCPRIM_304000_NS6detail18single_scan_kernelILb0ENS1_19wrapped_scan_configINS0_14default_configEiEEPKiPiSt4plusIvEiiEEvT1_mT4_T2_T3_,comdat
.Lfunc_end5:
	.size	_ZN7rocprim17ROCPRIM_304000_NS6detail18single_scan_kernelILb0ENS1_19wrapped_scan_configINS0_14default_configEiEEPKiPiSt4plusIvEiiEEvT1_mT4_T2_T3_, .Lfunc_end5-_ZN7rocprim17ROCPRIM_304000_NS6detail18single_scan_kernelILb0ENS1_19wrapped_scan_configINS0_14default_configEiEEPKiPiSt4plusIvEiiEEvT1_mT4_T2_T3_
                                        ; -- End function
	.set _ZN7rocprim17ROCPRIM_304000_NS6detail18single_scan_kernelILb0ENS1_19wrapped_scan_configINS0_14default_configEiEEPKiPiSt4plusIvEiiEEvT1_mT4_T2_T3_.num_vgpr, 22
	.set _ZN7rocprim17ROCPRIM_304000_NS6detail18single_scan_kernelILb0ENS1_19wrapped_scan_configINS0_14default_configEiEEPKiPiSt4plusIvEiiEEvT1_mT4_T2_T3_.num_agpr, 0
	.set _ZN7rocprim17ROCPRIM_304000_NS6detail18single_scan_kernelILb0ENS1_19wrapped_scan_configINS0_14default_configEiEEPKiPiSt4plusIvEiiEEvT1_mT4_T2_T3_.numbered_sgpr, 32
	.set _ZN7rocprim17ROCPRIM_304000_NS6detail18single_scan_kernelILb0ENS1_19wrapped_scan_configINS0_14default_configEiEEPKiPiSt4plusIvEiiEEvT1_mT4_T2_T3_.num_named_barrier, 0
	.set _ZN7rocprim17ROCPRIM_304000_NS6detail18single_scan_kernelILb0ENS1_19wrapped_scan_configINS0_14default_configEiEEPKiPiSt4plusIvEiiEEvT1_mT4_T2_T3_.private_seg_size, 0
	.set _ZN7rocprim17ROCPRIM_304000_NS6detail18single_scan_kernelILb0ENS1_19wrapped_scan_configINS0_14default_configEiEEPKiPiSt4plusIvEiiEEvT1_mT4_T2_T3_.uses_vcc, 1
	.set _ZN7rocprim17ROCPRIM_304000_NS6detail18single_scan_kernelILb0ENS1_19wrapped_scan_configINS0_14default_configEiEEPKiPiSt4plusIvEiiEEvT1_mT4_T2_T3_.uses_flat_scratch, 0
	.set _ZN7rocprim17ROCPRIM_304000_NS6detail18single_scan_kernelILb0ENS1_19wrapped_scan_configINS0_14default_configEiEEPKiPiSt4plusIvEiiEEvT1_mT4_T2_T3_.has_dyn_sized_stack, 0
	.set _ZN7rocprim17ROCPRIM_304000_NS6detail18single_scan_kernelILb0ENS1_19wrapped_scan_configINS0_14default_configEiEEPKiPiSt4plusIvEiiEEvT1_mT4_T2_T3_.has_recursion, 0
	.set _ZN7rocprim17ROCPRIM_304000_NS6detail18single_scan_kernelILb0ENS1_19wrapped_scan_configINS0_14default_configEiEEPKiPiSt4plusIvEiiEEvT1_mT4_T2_T3_.has_indirect_call, 0
	.section	.AMDGPU.csdata,"",@progbits
; Kernel info:
; codeLenInByte = 2284
; TotalNumSgprs: 38
; NumVgprs: 22
; NumAgprs: 0
; TotalNumVgprs: 22
; ScratchSize: 0
; MemoryBound: 0
; FloatMode: 240
; IeeeMode: 1
; LDSByteSize: 14336 bytes/workgroup (compile time only)
; SGPRBlocks: 4
; VGPRBlocks: 2
; NumSGPRsForWavesPerEU: 38
; NumVGPRsForWavesPerEU: 22
; AccumOffset: 24
; Occupancy: 8
; WaveLimiterHint : 0
; COMPUTE_PGM_RSRC2:SCRATCH_EN: 0
; COMPUTE_PGM_RSRC2:USER_SGPR: 2
; COMPUTE_PGM_RSRC2:TRAP_HANDLER: 0
; COMPUTE_PGM_RSRC2:TGID_X_EN: 1
; COMPUTE_PGM_RSRC2:TGID_Y_EN: 0
; COMPUTE_PGM_RSRC2:TGID_Z_EN: 0
; COMPUTE_PGM_RSRC2:TIDIG_COMP_CNT: 0
; COMPUTE_PGM_RSRC3_GFX90A:ACCUM_OFFSET: 5
; COMPUTE_PGM_RSRC3_GFX90A:TG_SPLIT: 0
	.section	.text._ZN7rocprim17ROCPRIM_304000_NS6detail31init_lookback_scan_state_kernelINS1_19lookback_scan_stateIlLb1ELb1EEEEEvT_jjPNS5_10value_typeE,"axG",@progbits,_ZN7rocprim17ROCPRIM_304000_NS6detail31init_lookback_scan_state_kernelINS1_19lookback_scan_stateIlLb1ELb1EEEEEvT_jjPNS5_10value_typeE,comdat
	.protected	_ZN7rocprim17ROCPRIM_304000_NS6detail31init_lookback_scan_state_kernelINS1_19lookback_scan_stateIlLb1ELb1EEEEEvT_jjPNS5_10value_typeE ; -- Begin function _ZN7rocprim17ROCPRIM_304000_NS6detail31init_lookback_scan_state_kernelINS1_19lookback_scan_stateIlLb1ELb1EEEEEvT_jjPNS5_10value_typeE
	.globl	_ZN7rocprim17ROCPRIM_304000_NS6detail31init_lookback_scan_state_kernelINS1_19lookback_scan_stateIlLb1ELb1EEEEEvT_jjPNS5_10value_typeE
	.p2align	8
	.type	_ZN7rocprim17ROCPRIM_304000_NS6detail31init_lookback_scan_state_kernelINS1_19lookback_scan_stateIlLb1ELb1EEEEEvT_jjPNS5_10value_typeE,@function
_ZN7rocprim17ROCPRIM_304000_NS6detail31init_lookback_scan_state_kernelINS1_19lookback_scan_stateIlLb1ELb1EEEEEvT_jjPNS5_10value_typeE: ; @_ZN7rocprim17ROCPRIM_304000_NS6detail31init_lookback_scan_state_kernelINS1_19lookback_scan_stateIlLb1ELb1EEEEEvT_jjPNS5_10value_typeE
; %bb.0:
	s_load_dword s3, s[0:1], 0x24
	s_load_dwordx2 s[8:9], s[0:1], 0x10
	s_load_dwordx4 s[4:7], s[0:1], 0x0
	s_waitcnt lgkmcnt(0)
	s_and_b32 s0, s3, 0xffff
	s_mul_i32 s2, s2, s0
	s_cmp_eq_u64 s[8:9], 0
	v_add_u32_e32 v0, s2, v0
	s_cbranch_scc1 .LBB6_10
; %bb.1:
	s_cmp_lt_u32 s7, s6
	s_cselect_b32 s0, s7, 0
	s_mov_b32 s3, 0
	v_cmp_eq_u32_e32 vcc, s0, v0
	s_and_saveexec_b64 s[0:1], vcc
	s_cbranch_execz .LBB6_9
; %bb.2:
	s_add_i32 s2, s7, 64
	s_lshl_b64 s[2:3], s[2:3], 4
	s_add_u32 s12, s4, s2
	s_addc_u32 s13, s5, s3
	v_mov_b64_e32 v[2:3], s[12:13]
	;;#ASMSTART
	global_load_dwordx4 v[2:5], v[2:3] off sc1	
s_waitcnt vmcnt(0)
	;;#ASMEND
	v_mov_b32_e32 v7, 0
	v_and_b32_e32 v6, 0xff, v4
	s_mov_b64 s[10:11], 0
	v_cmp_eq_u64_e32 vcc, 0, v[6:7]
	s_and_saveexec_b64 s[2:3], vcc
	s_cbranch_execz .LBB6_8
; %bb.3:
	s_mov_b32 s7, 1
	v_mov_b64_e32 v[8:9], s[12:13]
.LBB6_4:                                ; =>This Loop Header: Depth=1
                                        ;     Child Loop BB6_5 Depth 2
	s_mov_b32 s12, s7
.LBB6_5:                                ;   Parent Loop BB6_4 Depth=1
                                        ; =>  This Inner Loop Header: Depth=2
	s_add_i32 s12, s12, -1
	s_cmp_eq_u32 s12, 0
	s_sleep 1
	s_cbranch_scc0 .LBB6_5
; %bb.6:                                ;   in Loop: Header=BB6_4 Depth=1
	s_cmp_lt_u32 s7, 32
	s_cselect_b64 s[12:13], -1, 0
	s_cmp_lg_u64 s[12:13], 0
	;;#ASMSTART
	global_load_dwordx4 v[2:5], v[8:9] off sc1	
s_waitcnt vmcnt(0)
	;;#ASMEND
	s_addc_u32 s7, s7, 0
	v_and_b32_e32 v6, 0xff, v4
	v_cmp_ne_u64_e32 vcc, 0, v[6:7]
	s_or_b64 s[10:11], vcc, s[10:11]
	s_andn2_b64 exec, exec, s[10:11]
	s_cbranch_execnz .LBB6_4
; %bb.7:
	s_or_b64 exec, exec, s[10:11]
.LBB6_8:
	s_or_b64 exec, exec, s[2:3]
	v_mov_b32_e32 v1, 0
	global_store_dwordx2 v1, v[2:3], s[8:9]
.LBB6_9:
	s_or_b64 exec, exec, s[0:1]
.LBB6_10:
	v_cmp_gt_u32_e32 vcc, s6, v0
	s_and_saveexec_b64 s[0:1], vcc
	s_cbranch_execnz .LBB6_13
; %bb.11:
	s_or_b64 exec, exec, s[0:1]
	v_cmp_gt_u32_e32 vcc, 64, v0
	s_and_saveexec_b64 s[0:1], vcc
	s_cbranch_execnz .LBB6_14
.LBB6_12:
	s_endpgm
.LBB6_13:
	v_add_u32_e32 v2, 64, v0
	v_mov_b32_e32 v3, 0
	v_lshl_add_u64 v[6:7], v[2:3], 4, s[4:5]
	v_mov_b32_e32 v2, v3
	v_mov_b32_e32 v4, v3
	;; [unrolled: 1-line block ×3, first 2 shown]
	global_store_dwordx4 v[6:7], v[2:5], off
	s_or_b64 exec, exec, s[0:1]
	v_cmp_gt_u32_e32 vcc, 64, v0
	s_and_saveexec_b64 s[0:1], vcc
	s_cbranch_execz .LBB6_12
.LBB6_14:
	v_mov_b32_e32 v1, 0
	v_lshl_add_u64 v[4:5], v[0:1], 4, s[4:5]
	v_mov_b32_e32 v2, 0xff
	v_mov_b32_e32 v0, v1
	;; [unrolled: 1-line block ×3, first 2 shown]
	global_store_dwordx4 v[4:5], v[0:3], off
	s_endpgm
	.section	.rodata,"a",@progbits
	.p2align	6, 0x0
	.amdhsa_kernel _ZN7rocprim17ROCPRIM_304000_NS6detail31init_lookback_scan_state_kernelINS1_19lookback_scan_stateIlLb1ELb1EEEEEvT_jjPNS5_10value_typeE
		.amdhsa_group_segment_fixed_size 0
		.amdhsa_private_segment_fixed_size 0
		.amdhsa_kernarg_size 280
		.amdhsa_user_sgpr_count 2
		.amdhsa_user_sgpr_dispatch_ptr 0
		.amdhsa_user_sgpr_queue_ptr 0
		.amdhsa_user_sgpr_kernarg_segment_ptr 1
		.amdhsa_user_sgpr_dispatch_id 0
		.amdhsa_user_sgpr_kernarg_preload_length 0
		.amdhsa_user_sgpr_kernarg_preload_offset 0
		.amdhsa_user_sgpr_private_segment_size 0
		.amdhsa_uses_dynamic_stack 0
		.amdhsa_enable_private_segment 0
		.amdhsa_system_sgpr_workgroup_id_x 1
		.amdhsa_system_sgpr_workgroup_id_y 0
		.amdhsa_system_sgpr_workgroup_id_z 0
		.amdhsa_system_sgpr_workgroup_info 0
		.amdhsa_system_vgpr_workitem_id 0
		.amdhsa_next_free_vgpr 10
		.amdhsa_next_free_sgpr 14
		.amdhsa_accum_offset 12
		.amdhsa_reserve_vcc 1
		.amdhsa_float_round_mode_32 0
		.amdhsa_float_round_mode_16_64 0
		.amdhsa_float_denorm_mode_32 3
		.amdhsa_float_denorm_mode_16_64 3
		.amdhsa_dx10_clamp 1
		.amdhsa_ieee_mode 1
		.amdhsa_fp16_overflow 0
		.amdhsa_tg_split 0
		.amdhsa_exception_fp_ieee_invalid_op 0
		.amdhsa_exception_fp_denorm_src 0
		.amdhsa_exception_fp_ieee_div_zero 0
		.amdhsa_exception_fp_ieee_overflow 0
		.amdhsa_exception_fp_ieee_underflow 0
		.amdhsa_exception_fp_ieee_inexact 0
		.amdhsa_exception_int_div_zero 0
	.end_amdhsa_kernel
	.section	.text._ZN7rocprim17ROCPRIM_304000_NS6detail31init_lookback_scan_state_kernelINS1_19lookback_scan_stateIlLb1ELb1EEEEEvT_jjPNS5_10value_typeE,"axG",@progbits,_ZN7rocprim17ROCPRIM_304000_NS6detail31init_lookback_scan_state_kernelINS1_19lookback_scan_stateIlLb1ELb1EEEEEvT_jjPNS5_10value_typeE,comdat
.Lfunc_end6:
	.size	_ZN7rocprim17ROCPRIM_304000_NS6detail31init_lookback_scan_state_kernelINS1_19lookback_scan_stateIlLb1ELb1EEEEEvT_jjPNS5_10value_typeE, .Lfunc_end6-_ZN7rocprim17ROCPRIM_304000_NS6detail31init_lookback_scan_state_kernelINS1_19lookback_scan_stateIlLb1ELb1EEEEEvT_jjPNS5_10value_typeE
                                        ; -- End function
	.set _ZN7rocprim17ROCPRIM_304000_NS6detail31init_lookback_scan_state_kernelINS1_19lookback_scan_stateIlLb1ELb1EEEEEvT_jjPNS5_10value_typeE.num_vgpr, 10
	.set _ZN7rocprim17ROCPRIM_304000_NS6detail31init_lookback_scan_state_kernelINS1_19lookback_scan_stateIlLb1ELb1EEEEEvT_jjPNS5_10value_typeE.num_agpr, 0
	.set _ZN7rocprim17ROCPRIM_304000_NS6detail31init_lookback_scan_state_kernelINS1_19lookback_scan_stateIlLb1ELb1EEEEEvT_jjPNS5_10value_typeE.numbered_sgpr, 14
	.set _ZN7rocprim17ROCPRIM_304000_NS6detail31init_lookback_scan_state_kernelINS1_19lookback_scan_stateIlLb1ELb1EEEEEvT_jjPNS5_10value_typeE.num_named_barrier, 0
	.set _ZN7rocprim17ROCPRIM_304000_NS6detail31init_lookback_scan_state_kernelINS1_19lookback_scan_stateIlLb1ELb1EEEEEvT_jjPNS5_10value_typeE.private_seg_size, 0
	.set _ZN7rocprim17ROCPRIM_304000_NS6detail31init_lookback_scan_state_kernelINS1_19lookback_scan_stateIlLb1ELb1EEEEEvT_jjPNS5_10value_typeE.uses_vcc, 1
	.set _ZN7rocprim17ROCPRIM_304000_NS6detail31init_lookback_scan_state_kernelINS1_19lookback_scan_stateIlLb1ELb1EEEEEvT_jjPNS5_10value_typeE.uses_flat_scratch, 0
	.set _ZN7rocprim17ROCPRIM_304000_NS6detail31init_lookback_scan_state_kernelINS1_19lookback_scan_stateIlLb1ELb1EEEEEvT_jjPNS5_10value_typeE.has_dyn_sized_stack, 0
	.set _ZN7rocprim17ROCPRIM_304000_NS6detail31init_lookback_scan_state_kernelINS1_19lookback_scan_stateIlLb1ELb1EEEEEvT_jjPNS5_10value_typeE.has_recursion, 0
	.set _ZN7rocprim17ROCPRIM_304000_NS6detail31init_lookback_scan_state_kernelINS1_19lookback_scan_stateIlLb1ELb1EEEEEvT_jjPNS5_10value_typeE.has_indirect_call, 0
	.section	.AMDGPU.csdata,"",@progbits
; Kernel info:
; codeLenInByte = 404
; TotalNumSgprs: 20
; NumVgprs: 10
; NumAgprs: 0
; TotalNumVgprs: 10
; ScratchSize: 0
; MemoryBound: 0
; FloatMode: 240
; IeeeMode: 1
; LDSByteSize: 0 bytes/workgroup (compile time only)
; SGPRBlocks: 2
; VGPRBlocks: 1
; NumSGPRsForWavesPerEU: 20
; NumVGPRsForWavesPerEU: 10
; AccumOffset: 12
; Occupancy: 8
; WaveLimiterHint : 0
; COMPUTE_PGM_RSRC2:SCRATCH_EN: 0
; COMPUTE_PGM_RSRC2:USER_SGPR: 2
; COMPUTE_PGM_RSRC2:TRAP_HANDLER: 0
; COMPUTE_PGM_RSRC2:TGID_X_EN: 1
; COMPUTE_PGM_RSRC2:TGID_Y_EN: 0
; COMPUTE_PGM_RSRC2:TGID_Z_EN: 0
; COMPUTE_PGM_RSRC2:TIDIG_COMP_CNT: 0
; COMPUTE_PGM_RSRC3_GFX90A:ACCUM_OFFSET: 2
; COMPUTE_PGM_RSRC3_GFX90A:TG_SPLIT: 0
	.section	.text._ZN7rocprim17ROCPRIM_304000_NS6detail31init_lookback_scan_state_kernelINS1_19lookback_scan_stateIlLb0ELb1EEEEEvT_jjPNS5_10value_typeE,"axG",@progbits,_ZN7rocprim17ROCPRIM_304000_NS6detail31init_lookback_scan_state_kernelINS1_19lookback_scan_stateIlLb0ELb1EEEEEvT_jjPNS5_10value_typeE,comdat
	.protected	_ZN7rocprim17ROCPRIM_304000_NS6detail31init_lookback_scan_state_kernelINS1_19lookback_scan_stateIlLb0ELb1EEEEEvT_jjPNS5_10value_typeE ; -- Begin function _ZN7rocprim17ROCPRIM_304000_NS6detail31init_lookback_scan_state_kernelINS1_19lookback_scan_stateIlLb0ELb1EEEEEvT_jjPNS5_10value_typeE
	.globl	_ZN7rocprim17ROCPRIM_304000_NS6detail31init_lookback_scan_state_kernelINS1_19lookback_scan_stateIlLb0ELb1EEEEEvT_jjPNS5_10value_typeE
	.p2align	8
	.type	_ZN7rocprim17ROCPRIM_304000_NS6detail31init_lookback_scan_state_kernelINS1_19lookback_scan_stateIlLb0ELb1EEEEEvT_jjPNS5_10value_typeE,@function
_ZN7rocprim17ROCPRIM_304000_NS6detail31init_lookback_scan_state_kernelINS1_19lookback_scan_stateIlLb0ELb1EEEEEvT_jjPNS5_10value_typeE: ; @_ZN7rocprim17ROCPRIM_304000_NS6detail31init_lookback_scan_state_kernelINS1_19lookback_scan_stateIlLb0ELb1EEEEEvT_jjPNS5_10value_typeE
; %bb.0:
	s_load_dword s3, s[0:1], 0x24
	s_load_dwordx2 s[8:9], s[0:1], 0x10
	s_load_dwordx4 s[4:7], s[0:1], 0x0
	s_waitcnt lgkmcnt(0)
	s_and_b32 s0, s3, 0xffff
	s_mul_i32 s2, s2, s0
	s_cmp_eq_u64 s[8:9], 0
	v_add_u32_e32 v0, s2, v0
	s_cbranch_scc1 .LBB7_8
; %bb.1:
	s_cmp_lt_u32 s7, s6
	s_cselect_b32 s0, s7, 0
	s_mov_b32 s3, 0
	v_cmp_eq_u32_e32 vcc, s0, v0
	s_and_saveexec_b64 s[0:1], vcc
	s_cbranch_execz .LBB7_7
; %bb.2:
	s_add_i32 s2, s7, 64
	s_lshl_b64 s[2:3], s[2:3], 4
	s_add_u32 s12, s4, s2
	s_addc_u32 s13, s5, s3
	v_mov_b64_e32 v[2:3], s[12:13]
	;;#ASMSTART
	global_load_dwordx4 v[2:5], v[2:3] off sc1	
s_waitcnt vmcnt(0)
	;;#ASMEND
	v_mov_b32_e32 v7, 0
	v_and_b32_e32 v6, 0xff, v4
	s_mov_b64 s[10:11], 0
	v_cmp_eq_u64_e32 vcc, 0, v[6:7]
	s_and_saveexec_b64 s[2:3], vcc
	s_cbranch_execz .LBB7_6
; %bb.3:
	v_mov_b64_e32 v[8:9], s[12:13]
.LBB7_4:                                ; =>This Inner Loop Header: Depth=1
	;;#ASMSTART
	global_load_dwordx4 v[2:5], v[8:9] off sc1	
s_waitcnt vmcnt(0)
	;;#ASMEND
	s_nop 0
	v_and_b32_e32 v6, 0xff, v4
	v_cmp_ne_u64_e32 vcc, 0, v[6:7]
	s_or_b64 s[10:11], vcc, s[10:11]
	s_andn2_b64 exec, exec, s[10:11]
	s_cbranch_execnz .LBB7_4
; %bb.5:
	s_or_b64 exec, exec, s[10:11]
.LBB7_6:
	s_or_b64 exec, exec, s[2:3]
	v_mov_b32_e32 v1, 0
	global_store_dwordx2 v1, v[2:3], s[8:9]
.LBB7_7:
	s_or_b64 exec, exec, s[0:1]
.LBB7_8:
	v_cmp_gt_u32_e32 vcc, s6, v0
	s_and_saveexec_b64 s[0:1], vcc
	s_cbranch_execnz .LBB7_11
; %bb.9:
	s_or_b64 exec, exec, s[0:1]
	v_cmp_gt_u32_e32 vcc, 64, v0
	s_and_saveexec_b64 s[0:1], vcc
	s_cbranch_execnz .LBB7_12
.LBB7_10:
	s_endpgm
.LBB7_11:
	v_add_u32_e32 v2, 64, v0
	v_mov_b32_e32 v3, 0
	v_lshl_add_u64 v[6:7], v[2:3], 4, s[4:5]
	v_mov_b32_e32 v2, v3
	v_mov_b32_e32 v4, v3
	;; [unrolled: 1-line block ×3, first 2 shown]
	global_store_dwordx4 v[6:7], v[2:5], off
	s_or_b64 exec, exec, s[0:1]
	v_cmp_gt_u32_e32 vcc, 64, v0
	s_and_saveexec_b64 s[0:1], vcc
	s_cbranch_execz .LBB7_10
.LBB7_12:
	v_mov_b32_e32 v1, 0
	v_lshl_add_u64 v[4:5], v[0:1], 4, s[4:5]
	v_mov_b32_e32 v2, 0xff
	v_mov_b32_e32 v0, v1
	;; [unrolled: 1-line block ×3, first 2 shown]
	global_store_dwordx4 v[4:5], v[0:3], off
	s_endpgm
	.section	.rodata,"a",@progbits
	.p2align	6, 0x0
	.amdhsa_kernel _ZN7rocprim17ROCPRIM_304000_NS6detail31init_lookback_scan_state_kernelINS1_19lookback_scan_stateIlLb0ELb1EEEEEvT_jjPNS5_10value_typeE
		.amdhsa_group_segment_fixed_size 0
		.amdhsa_private_segment_fixed_size 0
		.amdhsa_kernarg_size 280
		.amdhsa_user_sgpr_count 2
		.amdhsa_user_sgpr_dispatch_ptr 0
		.amdhsa_user_sgpr_queue_ptr 0
		.amdhsa_user_sgpr_kernarg_segment_ptr 1
		.amdhsa_user_sgpr_dispatch_id 0
		.amdhsa_user_sgpr_kernarg_preload_length 0
		.amdhsa_user_sgpr_kernarg_preload_offset 0
		.amdhsa_user_sgpr_private_segment_size 0
		.amdhsa_uses_dynamic_stack 0
		.amdhsa_enable_private_segment 0
		.amdhsa_system_sgpr_workgroup_id_x 1
		.amdhsa_system_sgpr_workgroup_id_y 0
		.amdhsa_system_sgpr_workgroup_id_z 0
		.amdhsa_system_sgpr_workgroup_info 0
		.amdhsa_system_vgpr_workitem_id 0
		.amdhsa_next_free_vgpr 10
		.amdhsa_next_free_sgpr 14
		.amdhsa_accum_offset 12
		.amdhsa_reserve_vcc 1
		.amdhsa_float_round_mode_32 0
		.amdhsa_float_round_mode_16_64 0
		.amdhsa_float_denorm_mode_32 3
		.amdhsa_float_denorm_mode_16_64 3
		.amdhsa_dx10_clamp 1
		.amdhsa_ieee_mode 1
		.amdhsa_fp16_overflow 0
		.amdhsa_tg_split 0
		.amdhsa_exception_fp_ieee_invalid_op 0
		.amdhsa_exception_fp_denorm_src 0
		.amdhsa_exception_fp_ieee_div_zero 0
		.amdhsa_exception_fp_ieee_overflow 0
		.amdhsa_exception_fp_ieee_underflow 0
		.amdhsa_exception_fp_ieee_inexact 0
		.amdhsa_exception_int_div_zero 0
	.end_amdhsa_kernel
	.section	.text._ZN7rocprim17ROCPRIM_304000_NS6detail31init_lookback_scan_state_kernelINS1_19lookback_scan_stateIlLb0ELb1EEEEEvT_jjPNS5_10value_typeE,"axG",@progbits,_ZN7rocprim17ROCPRIM_304000_NS6detail31init_lookback_scan_state_kernelINS1_19lookback_scan_stateIlLb0ELb1EEEEEvT_jjPNS5_10value_typeE,comdat
.Lfunc_end7:
	.size	_ZN7rocprim17ROCPRIM_304000_NS6detail31init_lookback_scan_state_kernelINS1_19lookback_scan_stateIlLb0ELb1EEEEEvT_jjPNS5_10value_typeE, .Lfunc_end7-_ZN7rocprim17ROCPRIM_304000_NS6detail31init_lookback_scan_state_kernelINS1_19lookback_scan_stateIlLb0ELb1EEEEEvT_jjPNS5_10value_typeE
                                        ; -- End function
	.set _ZN7rocprim17ROCPRIM_304000_NS6detail31init_lookback_scan_state_kernelINS1_19lookback_scan_stateIlLb0ELb1EEEEEvT_jjPNS5_10value_typeE.num_vgpr, 10
	.set _ZN7rocprim17ROCPRIM_304000_NS6detail31init_lookback_scan_state_kernelINS1_19lookback_scan_stateIlLb0ELb1EEEEEvT_jjPNS5_10value_typeE.num_agpr, 0
	.set _ZN7rocprim17ROCPRIM_304000_NS6detail31init_lookback_scan_state_kernelINS1_19lookback_scan_stateIlLb0ELb1EEEEEvT_jjPNS5_10value_typeE.numbered_sgpr, 14
	.set _ZN7rocprim17ROCPRIM_304000_NS6detail31init_lookback_scan_state_kernelINS1_19lookback_scan_stateIlLb0ELb1EEEEEvT_jjPNS5_10value_typeE.num_named_barrier, 0
	.set _ZN7rocprim17ROCPRIM_304000_NS6detail31init_lookback_scan_state_kernelINS1_19lookback_scan_stateIlLb0ELb1EEEEEvT_jjPNS5_10value_typeE.private_seg_size, 0
	.set _ZN7rocprim17ROCPRIM_304000_NS6detail31init_lookback_scan_state_kernelINS1_19lookback_scan_stateIlLb0ELb1EEEEEvT_jjPNS5_10value_typeE.uses_vcc, 1
	.set _ZN7rocprim17ROCPRIM_304000_NS6detail31init_lookback_scan_state_kernelINS1_19lookback_scan_stateIlLb0ELb1EEEEEvT_jjPNS5_10value_typeE.uses_flat_scratch, 0
	.set _ZN7rocprim17ROCPRIM_304000_NS6detail31init_lookback_scan_state_kernelINS1_19lookback_scan_stateIlLb0ELb1EEEEEvT_jjPNS5_10value_typeE.has_dyn_sized_stack, 0
	.set _ZN7rocprim17ROCPRIM_304000_NS6detail31init_lookback_scan_state_kernelINS1_19lookback_scan_stateIlLb0ELb1EEEEEvT_jjPNS5_10value_typeE.has_recursion, 0
	.set _ZN7rocprim17ROCPRIM_304000_NS6detail31init_lookback_scan_state_kernelINS1_19lookback_scan_stateIlLb0ELb1EEEEEvT_jjPNS5_10value_typeE.has_indirect_call, 0
	.section	.AMDGPU.csdata,"",@progbits
; Kernel info:
; codeLenInByte = 368
; TotalNumSgprs: 20
; NumVgprs: 10
; NumAgprs: 0
; TotalNumVgprs: 10
; ScratchSize: 0
; MemoryBound: 0
; FloatMode: 240
; IeeeMode: 1
; LDSByteSize: 0 bytes/workgroup (compile time only)
; SGPRBlocks: 2
; VGPRBlocks: 1
; NumSGPRsForWavesPerEU: 20
; NumVGPRsForWavesPerEU: 10
; AccumOffset: 12
; Occupancy: 8
; WaveLimiterHint : 0
; COMPUTE_PGM_RSRC2:SCRATCH_EN: 0
; COMPUTE_PGM_RSRC2:USER_SGPR: 2
; COMPUTE_PGM_RSRC2:TRAP_HANDLER: 0
; COMPUTE_PGM_RSRC2:TGID_X_EN: 1
; COMPUTE_PGM_RSRC2:TGID_Y_EN: 0
; COMPUTE_PGM_RSRC2:TGID_Z_EN: 0
; COMPUTE_PGM_RSRC2:TIDIG_COMP_CNT: 0
; COMPUTE_PGM_RSRC3_GFX90A:ACCUM_OFFSET: 2
; COMPUTE_PGM_RSRC3_GFX90A:TG_SPLIT: 0
	.section	.text._ZN7rocprim17ROCPRIM_304000_NS6detail20lookback_scan_kernelILNS1_25lookback_scan_determinismE0ELb0ENS1_19wrapped_scan_configINS0_14default_configElEEPKlPlSt4plusIvEllNS1_19lookback_scan_stateIlLb1ELb1EEEEEvT2_T3_mT5_T4_T7_jPT6_SK_bb,"axG",@progbits,_ZN7rocprim17ROCPRIM_304000_NS6detail20lookback_scan_kernelILNS1_25lookback_scan_determinismE0ELb0ENS1_19wrapped_scan_configINS0_14default_configElEEPKlPlSt4plusIvEllNS1_19lookback_scan_stateIlLb1ELb1EEEEEvT2_T3_mT5_T4_T7_jPT6_SK_bb,comdat
	.protected	_ZN7rocprim17ROCPRIM_304000_NS6detail20lookback_scan_kernelILNS1_25lookback_scan_determinismE0ELb0ENS1_19wrapped_scan_configINS0_14default_configElEEPKlPlSt4plusIvEllNS1_19lookback_scan_stateIlLb1ELb1EEEEEvT2_T3_mT5_T4_T7_jPT6_SK_bb ; -- Begin function _ZN7rocprim17ROCPRIM_304000_NS6detail20lookback_scan_kernelILNS1_25lookback_scan_determinismE0ELb0ENS1_19wrapped_scan_configINS0_14default_configElEEPKlPlSt4plusIvEllNS1_19lookback_scan_stateIlLb1ELb1EEEEEvT2_T3_mT5_T4_T7_jPT6_SK_bb
	.globl	_ZN7rocprim17ROCPRIM_304000_NS6detail20lookback_scan_kernelILNS1_25lookback_scan_determinismE0ELb0ENS1_19wrapped_scan_configINS0_14default_configElEEPKlPlSt4plusIvEllNS1_19lookback_scan_stateIlLb1ELb1EEEEEvT2_T3_mT5_T4_T7_jPT6_SK_bb
	.p2align	8
	.type	_ZN7rocprim17ROCPRIM_304000_NS6detail20lookback_scan_kernelILNS1_25lookback_scan_determinismE0ELb0ENS1_19wrapped_scan_configINS0_14default_configElEEPKlPlSt4plusIvEllNS1_19lookback_scan_stateIlLb1ELb1EEEEEvT2_T3_mT5_T4_T7_jPT6_SK_bb,@function
_ZN7rocprim17ROCPRIM_304000_NS6detail20lookback_scan_kernelILNS1_25lookback_scan_determinismE0ELb0ENS1_19wrapped_scan_configINS0_14default_configElEEPKlPlSt4plusIvEllNS1_19lookback_scan_stateIlLb1ELb1EEEEEvT2_T3_mT5_T4_T7_jPT6_SK_bb: ; @_ZN7rocprim17ROCPRIM_304000_NS6detail20lookback_scan_kernelILNS1_25lookback_scan_determinismE0ELb0ENS1_19wrapped_scan_configINS0_14default_configElEEPKlPlSt4plusIvEllNS1_19lookback_scan_stateIlLb1ELb1EEEEEvT2_T3_mT5_T4_T7_jPT6_SK_bb
; %bb.0:
	s_endpgm
	.section	.rodata,"a",@progbits
	.p2align	6, 0x0
	.amdhsa_kernel _ZN7rocprim17ROCPRIM_304000_NS6detail20lookback_scan_kernelILNS1_25lookback_scan_determinismE0ELb0ENS1_19wrapped_scan_configINS0_14default_configElEEPKlPlSt4plusIvEllNS1_19lookback_scan_stateIlLb1ELb1EEEEEvT2_T3_mT5_T4_T7_jPT6_SK_bb
		.amdhsa_group_segment_fixed_size 0
		.amdhsa_private_segment_fixed_size 0
		.amdhsa_kernarg_size 76
		.amdhsa_user_sgpr_count 2
		.amdhsa_user_sgpr_dispatch_ptr 0
		.amdhsa_user_sgpr_queue_ptr 0
		.amdhsa_user_sgpr_kernarg_segment_ptr 1
		.amdhsa_user_sgpr_dispatch_id 0
		.amdhsa_user_sgpr_kernarg_preload_length 0
		.amdhsa_user_sgpr_kernarg_preload_offset 0
		.amdhsa_user_sgpr_private_segment_size 0
		.amdhsa_uses_dynamic_stack 0
		.amdhsa_enable_private_segment 0
		.amdhsa_system_sgpr_workgroup_id_x 1
		.amdhsa_system_sgpr_workgroup_id_y 0
		.amdhsa_system_sgpr_workgroup_id_z 0
		.amdhsa_system_sgpr_workgroup_info 0
		.amdhsa_system_vgpr_workitem_id 0
		.amdhsa_next_free_vgpr 1
		.amdhsa_next_free_sgpr 0
		.amdhsa_accum_offset 4
		.amdhsa_reserve_vcc 0
		.amdhsa_float_round_mode_32 0
		.amdhsa_float_round_mode_16_64 0
		.amdhsa_float_denorm_mode_32 3
		.amdhsa_float_denorm_mode_16_64 3
		.amdhsa_dx10_clamp 1
		.amdhsa_ieee_mode 1
		.amdhsa_fp16_overflow 0
		.amdhsa_tg_split 0
		.amdhsa_exception_fp_ieee_invalid_op 0
		.amdhsa_exception_fp_denorm_src 0
		.amdhsa_exception_fp_ieee_div_zero 0
		.amdhsa_exception_fp_ieee_overflow 0
		.amdhsa_exception_fp_ieee_underflow 0
		.amdhsa_exception_fp_ieee_inexact 0
		.amdhsa_exception_int_div_zero 0
	.end_amdhsa_kernel
	.section	.text._ZN7rocprim17ROCPRIM_304000_NS6detail20lookback_scan_kernelILNS1_25lookback_scan_determinismE0ELb0ENS1_19wrapped_scan_configINS0_14default_configElEEPKlPlSt4plusIvEllNS1_19lookback_scan_stateIlLb1ELb1EEEEEvT2_T3_mT5_T4_T7_jPT6_SK_bb,"axG",@progbits,_ZN7rocprim17ROCPRIM_304000_NS6detail20lookback_scan_kernelILNS1_25lookback_scan_determinismE0ELb0ENS1_19wrapped_scan_configINS0_14default_configElEEPKlPlSt4plusIvEllNS1_19lookback_scan_stateIlLb1ELb1EEEEEvT2_T3_mT5_T4_T7_jPT6_SK_bb,comdat
.Lfunc_end8:
	.size	_ZN7rocprim17ROCPRIM_304000_NS6detail20lookback_scan_kernelILNS1_25lookback_scan_determinismE0ELb0ENS1_19wrapped_scan_configINS0_14default_configElEEPKlPlSt4plusIvEllNS1_19lookback_scan_stateIlLb1ELb1EEEEEvT2_T3_mT5_T4_T7_jPT6_SK_bb, .Lfunc_end8-_ZN7rocprim17ROCPRIM_304000_NS6detail20lookback_scan_kernelILNS1_25lookback_scan_determinismE0ELb0ENS1_19wrapped_scan_configINS0_14default_configElEEPKlPlSt4plusIvEllNS1_19lookback_scan_stateIlLb1ELb1EEEEEvT2_T3_mT5_T4_T7_jPT6_SK_bb
                                        ; -- End function
	.set _ZN7rocprim17ROCPRIM_304000_NS6detail20lookback_scan_kernelILNS1_25lookback_scan_determinismE0ELb0ENS1_19wrapped_scan_configINS0_14default_configElEEPKlPlSt4plusIvEllNS1_19lookback_scan_stateIlLb1ELb1EEEEEvT2_T3_mT5_T4_T7_jPT6_SK_bb.num_vgpr, 0
	.set _ZN7rocprim17ROCPRIM_304000_NS6detail20lookback_scan_kernelILNS1_25lookback_scan_determinismE0ELb0ENS1_19wrapped_scan_configINS0_14default_configElEEPKlPlSt4plusIvEllNS1_19lookback_scan_stateIlLb1ELb1EEEEEvT2_T3_mT5_T4_T7_jPT6_SK_bb.num_agpr, 0
	.set _ZN7rocprim17ROCPRIM_304000_NS6detail20lookback_scan_kernelILNS1_25lookback_scan_determinismE0ELb0ENS1_19wrapped_scan_configINS0_14default_configElEEPKlPlSt4plusIvEllNS1_19lookback_scan_stateIlLb1ELb1EEEEEvT2_T3_mT5_T4_T7_jPT6_SK_bb.numbered_sgpr, 0
	.set _ZN7rocprim17ROCPRIM_304000_NS6detail20lookback_scan_kernelILNS1_25lookback_scan_determinismE0ELb0ENS1_19wrapped_scan_configINS0_14default_configElEEPKlPlSt4plusIvEllNS1_19lookback_scan_stateIlLb1ELb1EEEEEvT2_T3_mT5_T4_T7_jPT6_SK_bb.num_named_barrier, 0
	.set _ZN7rocprim17ROCPRIM_304000_NS6detail20lookback_scan_kernelILNS1_25lookback_scan_determinismE0ELb0ENS1_19wrapped_scan_configINS0_14default_configElEEPKlPlSt4plusIvEllNS1_19lookback_scan_stateIlLb1ELb1EEEEEvT2_T3_mT5_T4_T7_jPT6_SK_bb.private_seg_size, 0
	.set _ZN7rocprim17ROCPRIM_304000_NS6detail20lookback_scan_kernelILNS1_25lookback_scan_determinismE0ELb0ENS1_19wrapped_scan_configINS0_14default_configElEEPKlPlSt4plusIvEllNS1_19lookback_scan_stateIlLb1ELb1EEEEEvT2_T3_mT5_T4_T7_jPT6_SK_bb.uses_vcc, 0
	.set _ZN7rocprim17ROCPRIM_304000_NS6detail20lookback_scan_kernelILNS1_25lookback_scan_determinismE0ELb0ENS1_19wrapped_scan_configINS0_14default_configElEEPKlPlSt4plusIvEllNS1_19lookback_scan_stateIlLb1ELb1EEEEEvT2_T3_mT5_T4_T7_jPT6_SK_bb.uses_flat_scratch, 0
	.set _ZN7rocprim17ROCPRIM_304000_NS6detail20lookback_scan_kernelILNS1_25lookback_scan_determinismE0ELb0ENS1_19wrapped_scan_configINS0_14default_configElEEPKlPlSt4plusIvEllNS1_19lookback_scan_stateIlLb1ELb1EEEEEvT2_T3_mT5_T4_T7_jPT6_SK_bb.has_dyn_sized_stack, 0
	.set _ZN7rocprim17ROCPRIM_304000_NS6detail20lookback_scan_kernelILNS1_25lookback_scan_determinismE0ELb0ENS1_19wrapped_scan_configINS0_14default_configElEEPKlPlSt4plusIvEllNS1_19lookback_scan_stateIlLb1ELb1EEEEEvT2_T3_mT5_T4_T7_jPT6_SK_bb.has_recursion, 0
	.set _ZN7rocprim17ROCPRIM_304000_NS6detail20lookback_scan_kernelILNS1_25lookback_scan_determinismE0ELb0ENS1_19wrapped_scan_configINS0_14default_configElEEPKlPlSt4plusIvEllNS1_19lookback_scan_stateIlLb1ELb1EEEEEvT2_T3_mT5_T4_T7_jPT6_SK_bb.has_indirect_call, 0
	.section	.AMDGPU.csdata,"",@progbits
; Kernel info:
; codeLenInByte = 4
; TotalNumSgprs: 6
; NumVgprs: 0
; NumAgprs: 0
; TotalNumVgprs: 0
; ScratchSize: 0
; MemoryBound: 0
; FloatMode: 240
; IeeeMode: 1
; LDSByteSize: 0 bytes/workgroup (compile time only)
; SGPRBlocks: 0
; VGPRBlocks: 0
; NumSGPRsForWavesPerEU: 6
; NumVGPRsForWavesPerEU: 1
; AccumOffset: 4
; Occupancy: 8
; WaveLimiterHint : 0
; COMPUTE_PGM_RSRC2:SCRATCH_EN: 0
; COMPUTE_PGM_RSRC2:USER_SGPR: 2
; COMPUTE_PGM_RSRC2:TRAP_HANDLER: 0
; COMPUTE_PGM_RSRC2:TGID_X_EN: 1
; COMPUTE_PGM_RSRC2:TGID_Y_EN: 0
; COMPUTE_PGM_RSRC2:TGID_Z_EN: 0
; COMPUTE_PGM_RSRC2:TIDIG_COMP_CNT: 0
; COMPUTE_PGM_RSRC3_GFX90A:ACCUM_OFFSET: 0
; COMPUTE_PGM_RSRC3_GFX90A:TG_SPLIT: 0
	.section	.text._ZN7rocprim17ROCPRIM_304000_NS6detail20lookback_scan_kernelILNS1_25lookback_scan_determinismE0ELb0ENS1_19wrapped_scan_configINS0_14default_configElEEPKlPlSt4plusIvEllNS1_19lookback_scan_stateIlLb0ELb1EEEEEvT2_T3_mT5_T4_T7_jPT6_SK_bb,"axG",@progbits,_ZN7rocprim17ROCPRIM_304000_NS6detail20lookback_scan_kernelILNS1_25lookback_scan_determinismE0ELb0ENS1_19wrapped_scan_configINS0_14default_configElEEPKlPlSt4plusIvEllNS1_19lookback_scan_stateIlLb0ELb1EEEEEvT2_T3_mT5_T4_T7_jPT6_SK_bb,comdat
	.protected	_ZN7rocprim17ROCPRIM_304000_NS6detail20lookback_scan_kernelILNS1_25lookback_scan_determinismE0ELb0ENS1_19wrapped_scan_configINS0_14default_configElEEPKlPlSt4plusIvEllNS1_19lookback_scan_stateIlLb0ELb1EEEEEvT2_T3_mT5_T4_T7_jPT6_SK_bb ; -- Begin function _ZN7rocprim17ROCPRIM_304000_NS6detail20lookback_scan_kernelILNS1_25lookback_scan_determinismE0ELb0ENS1_19wrapped_scan_configINS0_14default_configElEEPKlPlSt4plusIvEllNS1_19lookback_scan_stateIlLb0ELb1EEEEEvT2_T3_mT5_T4_T7_jPT6_SK_bb
	.globl	_ZN7rocprim17ROCPRIM_304000_NS6detail20lookback_scan_kernelILNS1_25lookback_scan_determinismE0ELb0ENS1_19wrapped_scan_configINS0_14default_configElEEPKlPlSt4plusIvEllNS1_19lookback_scan_stateIlLb0ELb1EEEEEvT2_T3_mT5_T4_T7_jPT6_SK_bb
	.p2align	8
	.type	_ZN7rocprim17ROCPRIM_304000_NS6detail20lookback_scan_kernelILNS1_25lookback_scan_determinismE0ELb0ENS1_19wrapped_scan_configINS0_14default_configElEEPKlPlSt4plusIvEllNS1_19lookback_scan_stateIlLb0ELb1EEEEEvT2_T3_mT5_T4_T7_jPT6_SK_bb,@function
_ZN7rocprim17ROCPRIM_304000_NS6detail20lookback_scan_kernelILNS1_25lookback_scan_determinismE0ELb0ENS1_19wrapped_scan_configINS0_14default_configElEEPKlPlSt4plusIvEllNS1_19lookback_scan_stateIlLb0ELb1EEEEEvT2_T3_mT5_T4_T7_jPT6_SK_bb: ; @_ZN7rocprim17ROCPRIM_304000_NS6detail20lookback_scan_kernelILNS1_25lookback_scan_determinismE0ELb0ENS1_19wrapped_scan_configINS0_14default_configElEEPKlPlSt4plusIvEllNS1_19lookback_scan_stateIlLb0ELb1EEEEEvT2_T3_mT5_T4_T7_jPT6_SK_bb
; %bb.0:
	s_load_dword s3, s[0:1], 0x30
	s_load_dwordx4 s[20:23], s[0:1], 0x0
	s_load_dwordx2 s[4:5], s[0:1], 0x10
	s_mul_i32 s6, s2, 0x600
	s_mov_b32 s7, 0
	s_waitcnt lgkmcnt(0)
	s_add_i32 s3, s3, -1
	s_mul_i32 s8, s3, 0x600
	s_sub_u32 s28, s4, s8
	s_subb_u32 s29, s5, 0
	s_cmp_lg_u32 s2, s3
	s_cselect_b64 s[24:25], -1, 0
	s_lshl_b64 s[26:27], s[6:7], 3
	s_add_u32 s6, s20, s26
	s_addc_u32 s7, s21, s27
	s_mov_b64 s[4:5], -1
	s_and_b64 vcc, exec, s[24:25]
	v_lshlrev_b32_e32 v26, 3, v0
	s_cbranch_vccz .LBB9_2
; %bb.1:
	v_mov_b32_e32 v27, 0
	v_lshl_add_u64 v[2:3], s[6:7], 0, v[26:27]
	v_add_co_u32_e32 v8, vcc, 0x1000, v2
	global_load_dwordx2 v[4:5], v26, s[6:7]
	global_load_dwordx2 v[6:7], v26, s[6:7] offset:2048
	v_addc_co_u32_e32 v9, vcc, 0, v3, vcc
	v_add_co_u32_e32 v2, vcc, 0x2000, v2
	s_mov_b64 s[4:5], 0
	s_nop 0
	v_addc_co_u32_e32 v3, vcc, 0, v3, vcc
	global_load_dwordx2 v[10:11], v[8:9], off
	global_load_dwordx2 v[12:13], v[8:9], off offset:2048
	global_load_dwordx2 v[14:15], v[2:3], off
	global_load_dwordx2 v[16:17], v[2:3], off offset:2048
	s_waitcnt vmcnt(4)
	ds_write2st64_b64 v26, v[4:5], v[6:7] offset1:4
	s_waitcnt vmcnt(2)
	ds_write2st64_b64 v26, v[10:11], v[12:13] offset0:8 offset1:12
	s_waitcnt vmcnt(0)
	ds_write2st64_b64 v26, v[14:15], v[16:17] offset0:16 offset1:20
	s_waitcnt lgkmcnt(0)
	s_barrier
.LBB9_2:
	s_andn2_b64 vcc, exec, s[4:5]
	v_cmp_gt_u32_e64 s[4:5], s28, v0
	s_cbranch_vccnz .LBB9_16
; %bb.3:
	s_load_dwordx2 s[8:9], s[6:7], 0x0
	v_mov_b32_e32 v27, 0
	v_lshl_add_u64 v[18:19], s[6:7], 0, v[26:27]
	s_waitcnt lgkmcnt(0)
	s_mov_b32 s10, s8
	s_mov_b32 s11, s9
	;; [unrolled: 1-line block ×10, first 2 shown]
	v_mov_b64_e32 v[2:3], s[8:9]
	v_mov_b64_e32 v[4:5], s[10:11]
	;; [unrolled: 1-line block ×8, first 2 shown]
	s_and_saveexec_b64 s[6:7], s[4:5]
	s_cbranch_execz .LBB9_5
; %bb.4:
	global_load_dwordx2 v[2:3], v[18:19], off
	v_mov_b32_e32 v4, s8
	v_mov_b32_e32 v5, s9
	;; [unrolled: 1-line block ×10, first 2 shown]
.LBB9_5:
	s_or_b64 exec, exec, s[6:7]
	v_or_b32_e32 v1, 0x100, v0
	v_cmp_gt_u32_e32 vcc, s28, v1
	s_and_saveexec_b64 s[4:5], vcc
	s_cbranch_execz .LBB9_7
; %bb.6:
	global_load_dwordx2 v[4:5], v[18:19], off offset:2048
.LBB9_7:
	s_or_b64 exec, exec, s[4:5]
	v_or_b32_e32 v1, 0x200, v0
	v_cmp_gt_u32_e32 vcc, s28, v1
	s_and_saveexec_b64 s[4:5], vcc
	s_cbranch_execz .LBB9_9
; %bb.8:
	v_add_co_u32_e32 v6, vcc, 0x1000, v18
	s_nop 1
	v_addc_co_u32_e32 v7, vcc, 0, v19, vcc
	global_load_dwordx2 v[6:7], v[6:7], off
.LBB9_9:
	s_or_b64 exec, exec, s[4:5]
	v_or_b32_e32 v1, 0x300, v0
	v_cmp_gt_u32_e32 vcc, s28, v1
	s_and_saveexec_b64 s[4:5], vcc
	s_cbranch_execz .LBB9_11
; %bb.10:
	v_add_co_u32_e32 v8, vcc, 0x1000, v18
	s_nop 1
	v_addc_co_u32_e32 v9, vcc, 0, v19, vcc
	global_load_dwordx2 v[8:9], v[8:9], off offset:2048
.LBB9_11:
	s_or_b64 exec, exec, s[4:5]
	v_or_b32_e32 v1, 0x400, v0
	v_cmp_gt_u32_e32 vcc, s28, v1
	s_and_saveexec_b64 s[4:5], vcc
	s_cbranch_execz .LBB9_13
; %bb.12:
	v_add_co_u32_e32 v10, vcc, 0x2000, v18
	s_nop 1
	v_addc_co_u32_e32 v11, vcc, 0, v19, vcc
	global_load_dwordx2 v[10:11], v[10:11], off
.LBB9_13:
	s_or_b64 exec, exec, s[4:5]
	v_or_b32_e32 v1, 0x500, v0
	v_cmp_gt_u32_e32 vcc, s28, v1
	s_and_saveexec_b64 s[4:5], vcc
	s_cbranch_execz .LBB9_15
; %bb.14:
	v_add_co_u32_e32 v12, vcc, 0x2000, v18
	s_nop 1
	v_addc_co_u32_e32 v13, vcc, 0, v19, vcc
	global_load_dwordx2 v[12:13], v[12:13], off offset:2048
.LBB9_15:
	s_or_b64 exec, exec, s[4:5]
	s_waitcnt vmcnt(0)
	ds_write2st64_b64 v26, v[2:3], v[4:5] offset1:4
	ds_write2st64_b64 v26, v[6:7], v[8:9] offset0:8 offset1:12
	ds_write2st64_b64 v26, v[10:11], v[12:13] offset0:16 offset1:20
	s_waitcnt lgkmcnt(0)
	s_barrier
.LBB9_16:
	v_mul_u32_u24_e32 v1, 48, v0
	ds_read_b128 v[10:13], v1
	ds_read_b128 v[6:9], v1 offset:16
	ds_read_b128 v[2:5], v1 offset:32
	s_load_dwordx2 s[12:13], s[0:1], 0x28
	s_cmp_lg_u32 s2, 0
	v_mbcnt_lo_u32_b32 v27, -1, 0
	s_waitcnt lgkmcnt(0)
	s_barrier
	s_cbranch_scc0 .LBB9_40
; %bb.17:
	v_lshl_add_u64 v[14:15], v[12:13], 0, v[10:11]
	v_lshl_add_u64 v[14:15], v[14:15], 0, v[6:7]
	;; [unrolled: 1-line block ×5, first 2 shown]
	v_mov_b32_e32 v18, 0
	v_mbcnt_hi_u32_b32 v30, -1, v27
	v_mov_b32_dpp v16, v14 row_shr:1 row_mask:0xf bank_mask:0xf
	v_mov_b32_e32 v17, v18
	v_and_b32_e32 v20, 15, v30
	v_mov_b32_dpp v19, v15 row_shr:1 row_mask:0xf bank_mask:0xf
	v_lshl_add_u64 v[16:17], v[14:15], 0, v[16:17]
	v_lshl_add_u64 v[18:19], v[18:19], 0, v[16:17]
	v_cmp_eq_u32_e32 vcc, 0, v20
	v_cmp_eq_u32_e64 s[4:5], 0, v30
	v_cmp_ne_u32_e64 s[6:7], 0, v30
	v_cndmask_b32_e32 v21, v16, v14, vcc
	v_cndmask_b32_e32 v17, v19, v15, vcc
	v_cndmask_b32_e32 v16, v18, v14, vcc
	v_mov_b32_dpp v18, v21 row_shr:2 row_mask:0xf bank_mask:0xf
	v_mov_b32_dpp v19, v17 row_shr:2 row_mask:0xf bank_mask:0xf
	v_lshl_add_u64 v[18:19], v[18:19], 0, v[16:17]
	v_cmp_lt_u32_e32 vcc, 1, v20
	s_nop 1
	v_cndmask_b32_e32 v21, v21, v18, vcc
	v_cndmask_b32_e32 v17, v17, v19, vcc
	v_cndmask_b32_e32 v16, v16, v18, vcc
	v_mov_b32_dpp v18, v21 row_shr:4 row_mask:0xf bank_mask:0xf
	v_mov_b32_dpp v19, v17 row_shr:4 row_mask:0xf bank_mask:0xf
	v_lshl_add_u64 v[18:19], v[18:19], 0, v[16:17]
	v_cmp_lt_u32_e32 vcc, 3, v20
	s_nop 1
	;; [unrolled: 8-line block ×3, first 2 shown]
	v_cndmask_b32_e32 v20, v21, v18, vcc
	v_cndmask_b32_e32 v17, v17, v19, vcc
	;; [unrolled: 1-line block ×3, first 2 shown]
	v_mov_b32_dpp v18, v20 row_bcast:15 row_mask:0xf bank_mask:0xf
	v_mov_b32_dpp v19, v17 row_bcast:15 row_mask:0xf bank_mask:0xf
	v_and_b32_e32 v21, 16, v30
	v_lshl_add_u64 v[18:19], v[18:19], 0, v[16:17]
	v_cmp_eq_u32_e32 vcc, 0, v21
	s_nop 1
	v_cndmask_b32_e32 v21, v19, v17, vcc
	v_cndmask_b32_e32 v20, v18, v20, vcc
	s_nop 0
	v_mov_b32_dpp v21, v21 row_bcast:31 row_mask:0xf bank_mask:0xf
	v_mov_b32_dpp v20, v20 row_bcast:31 row_mask:0xf bank_mask:0xf
	s_and_saveexec_b64 s[8:9], s[6:7]
; %bb.18:
	v_cndmask_b32_e32 v15, v19, v17, vcc
	v_cndmask_b32_e32 v14, v18, v16, vcc
	v_cmp_lt_u32_e32 vcc, 31, v30
	s_nop 1
	v_cndmask_b32_e32 v17, 0, v21, vcc
	v_cndmask_b32_e32 v16, 0, v20, vcc
	v_lshl_add_u64 v[14:15], v[16:17], 0, v[14:15]
; %bb.19:
	s_or_b64 exec, exec, s[8:9]
	v_or_b32_e32 v17, 63, v0
	v_lshrrev_b32_e32 v16, 6, v0
	v_cmp_eq_u32_e32 vcc, v0, v17
	s_and_saveexec_b64 s[6:7], vcc
; %bb.20:
	v_lshlrev_b32_e32 v17, 3, v16
	ds_write_b64 v17, v[14:15]
; %bb.21:
	s_or_b64 exec, exec, s[6:7]
	v_cmp_gt_u32_e32 vcc, 4, v0
	s_waitcnt lgkmcnt(0)
	s_barrier
	s_and_saveexec_b64 s[6:7], vcc
	s_cbranch_execz .LBB9_23
; %bb.22:
	ds_read_b64 v[18:19], v26
	v_mov_b32_e32 v20, 0
	v_mov_b32_e32 v23, v20
	v_and_b32_e32 v17, 3, v30
	v_cmp_eq_u32_e32 vcc, 0, v17
	s_waitcnt lgkmcnt(0)
	v_mov_b32_dpp v22, v18 row_shr:1 row_mask:0xf bank_mask:0xf
	v_mov_b32_dpp v21, v19 row_shr:1 row_mask:0xf bank_mask:0xf
	v_lshl_add_u64 v[22:23], v[18:19], 0, v[22:23]
	v_lshl_add_u64 v[20:21], v[20:21], 0, v[22:23]
	v_cndmask_b32_e32 v21, v21, v19, vcc
	v_cndmask_b32_e32 v20, v20, v18, vcc
	;; [unrolled: 1-line block ×3, first 2 shown]
	v_mov_b32_dpp v19, v21 row_shr:2 row_mask:0xf bank_mask:0xf
	v_cmp_lt_u32_e32 vcc, 1, v17
	v_mov_b32_dpp v18, v18 row_shr:2 row_mask:0xf bank_mask:0xf
	s_nop 0
	v_cndmask_b32_e32 v18, 0, v18, vcc
	v_cndmask_b32_e32 v19, 0, v19, vcc
	v_lshl_add_u64 v[18:19], v[18:19], 0, v[20:21]
	ds_write_b64 v26, v[18:19]
.LBB9_23:
	s_or_b64 exec, exec, s[6:7]
	v_cmp_gt_u32_e32 vcc, 64, v0
	v_cmp_lt_u32_e64 s[6:7], 63, v0
	s_waitcnt lgkmcnt(0)
	s_barrier
                                        ; implicit-def: $vgpr22_vgpr23
	s_and_saveexec_b64 s[8:9], s[6:7]
	s_cbranch_execz .LBB9_25
; %bb.24:
	v_lshl_add_u32 v16, v16, 3, -8
	ds_read_b64 v[22:23], v16
	s_waitcnt lgkmcnt(0)
	v_lshl_add_u64 v[14:15], v[22:23], 0, v[14:15]
.LBB9_25:
	s_or_b64 exec, exec, s[8:9]
	v_add_u32_e32 v16, -1, v30
	v_and_b32_e32 v17, 64, v30
	v_cmp_lt_i32_e64 s[6:7], v16, v17
	s_nop 1
	v_cndmask_b32_e64 v16, v16, v30, s[6:7]
	v_lshlrev_b32_e32 v16, 2, v16
	ds_bpermute_b32 v32, v16, v14
	ds_bpermute_b32 v33, v16, v15
	s_and_saveexec_b64 s[14:15], vcc
	s_cbranch_execz .LBB9_45
; %bb.26:
	v_mov_b32_e32 v17, 0
	ds_read_b64 v[14:15], v17 offset:24
	s_and_saveexec_b64 s[6:7], s[4:5]
	s_cbranch_execz .LBB9_28
; %bb.27:
	s_add_i32 s8, s2, 64
	s_mov_b32 s9, 0
	s_lshl_b64 s[8:9], s[8:9], 4
	s_add_u32 s8, s12, s8
	s_addc_u32 s9, s13, s9
	v_mov_b32_e32 v16, 1
	v_mov_b64_e32 v[18:19], s[8:9]
	s_waitcnt lgkmcnt(0)
	;;#ASMSTART
	global_store_dwordx4 v[18:19], v[14:17] off sc1	
s_waitcnt vmcnt(0)
	;;#ASMEND
.LBB9_28:
	s_or_b64 exec, exec, s[6:7]
	v_xad_u32 v24, v30, -1, s2
	v_add_u32_e32 v16, 64, v24
	v_lshl_add_u64 v[28:29], v[16:17], 4, s[12:13]
	;;#ASMSTART
	global_load_dwordx4 v[18:21], v[28:29] off sc1	
s_waitcnt vmcnt(0)
	;;#ASMEND
	s_nop 0
	v_cmp_eq_u16_sdwa s[8:9], v20, v17 src0_sel:BYTE_0 src1_sel:DWORD
	s_and_saveexec_b64 s[6:7], s[8:9]
	s_cbranch_execz .LBB9_32
; %bb.29:
	s_mov_b64 s[8:9], 0
	v_mov_b32_e32 v16, 0
.LBB9_30:                               ; =>This Inner Loop Header: Depth=1
	;;#ASMSTART
	global_load_dwordx4 v[18:21], v[28:29] off sc1	
s_waitcnt vmcnt(0)
	;;#ASMEND
	s_nop 0
	v_cmp_ne_u16_sdwa s[10:11], v20, v16 src0_sel:BYTE_0 src1_sel:DWORD
	s_or_b64 s[8:9], s[10:11], s[8:9]
	s_andn2_b64 exec, exec, s[8:9]
	s_cbranch_execnz .LBB9_30
; %bb.31:
	s_or_b64 exec, exec, s[8:9]
.LBB9_32:
	s_or_b64 exec, exec, s[6:7]
	v_mov_b32_e32 v34, 2
	v_cmp_eq_u16_sdwa s[6:7], v20, v34 src0_sel:BYTE_0 src1_sel:DWORD
	v_lshlrev_b64 v[16:17], v30, -1
	v_and_b32_e32 v31, 63, v30
	v_and_b32_e32 v21, s7, v17
	v_or_b32_e32 v21, 0x80000000, v21
	v_and_b32_e32 v25, s6, v16
	v_ffbl_b32_e32 v21, v21
	v_add_u32_e32 v21, 32, v21
	v_ffbl_b32_e32 v25, v25
	v_cmp_ne_u32_e32 vcc, 63, v31
	v_min_u32_e32 v21, v25, v21
	v_add_u32_e32 v36, 1, v30
	v_addc_co_u32_e32 v25, vcc, 0, v30, vcc
	v_lshlrev_b32_e32 v35, 2, v25
	ds_bpermute_b32 v28, v35, v18
	ds_bpermute_b32 v39, v35, v19
	v_mov_b32_e32 v25, 0
	v_mov_b32_e32 v29, v25
	;; [unrolled: 1-line block ×3, first 2 shown]
	s_waitcnt lgkmcnt(1)
	v_lshl_add_u64 v[28:29], v[18:19], 0, v[28:29]
	v_cmp_le_u32_e32 vcc, v36, v21
	v_cmp_gt_u32_e64 s[6:7], 62, v31
	s_waitcnt lgkmcnt(0)
	v_lshl_add_u64 v[38:39], v[38:39], 0, v[28:29]
	v_cndmask_b32_e32 v42, v18, v28, vcc
	v_cndmask_b32_e64 v28, 0, 2, s[6:7]
	v_cndmask_b32_e32 v29, v19, v39, vcc
	v_add_lshl_u32 v37, v28, v30, 2
	ds_bpermute_b32 v40, v37, v42
	ds_bpermute_b32 v41, v37, v29
	v_cndmask_b32_e32 v28, v18, v38, vcc
	v_add_u32_e32 v38, 2, v30
	v_cmp_gt_u32_e64 s[8:9], 60, v31
	v_cmp_le_u32_e64 s[6:7], v38, v21
	s_waitcnt lgkmcnt(0)
	v_lshl_add_u64 v[40:41], v[40:41], 0, v[28:29]
	v_cndmask_b32_e64 v39, 0, 4, s[8:9]
	v_cndmask_b32_e64 v44, v42, v40, s[6:7]
	;; [unrolled: 1-line block ×3, first 2 shown]
	v_add_lshl_u32 v39, v39, v30, 2
	ds_bpermute_b32 v42, v39, v44
	ds_bpermute_b32 v43, v39, v29
	v_cndmask_b32_e64 v28, v28, v40, s[6:7]
	v_add_u32_e32 v40, 4, v30
	v_cmp_gt_u32_e64 s[10:11], 56, v31
	v_cmp_le_u32_e64 s[8:9], v40, v21
	s_waitcnt lgkmcnt(0)
	v_lshl_add_u64 v[42:43], v[42:43], 0, v[28:29]
	v_cndmask_b32_e64 v41, 0, 8, s[10:11]
	v_cndmask_b32_e64 v46, v44, v42, s[8:9]
	;; [unrolled: 1-line block ×3, first 2 shown]
	v_add_lshl_u32 v41, v41, v30, 2
	ds_bpermute_b32 v44, v41, v46
	ds_bpermute_b32 v45, v41, v29
	s_or_b64 s[10:11], vcc, s[6:7]
	v_cndmask_b32_e64 v28, v28, v42, s[8:9]
	v_add_u32_e32 v42, 8, v30
	v_cmp_gt_u32_e64 s[6:7], 48, v31
	s_waitcnt lgkmcnt(0)
	v_lshl_add_u64 v[44:45], v[44:45], 0, v[28:29]
	v_cmp_le_u32_e32 vcc, v42, v21
	v_cndmask_b32_e64 v31, 0, 16, s[6:7]
	v_add_lshl_u32 v43, v31, v30, 2
	v_cndmask_b32_e32 v50, v46, v44, vcc
	v_cndmask_b32_e32 v29, v29, v45, vcc
	ds_bpermute_b32 v46, v43, v50
	ds_bpermute_b32 v47, v43, v29
	s_or_b64 s[6:7], s[8:9], s[10:11]
	v_cndmask_b32_e32 v28, v28, v44, vcc
	v_add_u32_e32 v44, 16, v30
	s_or_b64 s[6:7], vcc, s[6:7]
	s_waitcnt lgkmcnt(0)
	v_lshl_add_u64 v[48:49], v[46:47], 0, v[28:29]
	v_cmp_le_u32_e32 vcc, v44, v21
	v_mov_b32_e32 v45, 0x80
	v_lshl_or_b32 v45, v30, 2, v45
	v_cndmask_b32_e32 v31, v50, v48, vcc
	v_cndmask_b32_e32 v29, v29, v49, vcc
	ds_bpermute_b32 v47, v45, v29
	ds_bpermute_b32 v49, v45, v31
	v_add_u32_e32 v46, 32, v30
	s_or_b64 s[6:7], vcc, s[6:7]
	v_cndmask_b32_e32 v28, v28, v48, vcc
	v_cmp_le_u32_e32 vcc, v46, v21
	s_waitcnt lgkmcnt(1)
	s_nop 0
	v_cndmask_b32_e32 v31, 0, v47, vcc
	s_waitcnt lgkmcnt(0)
	v_cndmask_b32_e32 v30, 0, v49, vcc
	v_lshl_add_u64 v[28:29], v[30:31], 0, v[28:29]
	s_or_b64 vcc, vcc, s[6:7]
	v_cndmask_b32_e32 v19, v19, v29, vcc
	v_cndmask_b32_e32 v18, v18, v28, vcc
	s_branch .LBB9_36
.LBB9_33:                               ;   in Loop: Header=BB9_36 Depth=1
	s_or_b64 exec, exec, s[8:9]
.LBB9_34:                               ;   in Loop: Header=BB9_36 Depth=1
	s_or_b64 exec, exec, s[6:7]
	v_cmp_eq_u16_sdwa s[6:7], v20, v34 src0_sel:BYTE_0 src1_sel:DWORD
	v_subrev_u32_e32 v21, 64, v24
	ds_bpermute_b32 v31, v35, v19
	v_and_b32_e32 v24, s7, v17
	v_or_b32_e32 v24, 0x80000000, v24
	v_ffbl_b32_e32 v24, v24
	v_add_u32_e32 v47, 32, v24
	ds_bpermute_b32 v24, v35, v18
	v_and_b32_e32 v30, s6, v16
	v_ffbl_b32_e32 v30, v30
	v_min_u32_e32 v47, v30, v47
	v_mov_b32_e32 v30, v25
	s_waitcnt lgkmcnt(0)
	v_lshl_add_u64 v[48:49], v[18:19], 0, v[24:25]
	v_lshl_add_u64 v[30:31], v[30:31], 0, v[48:49]
	v_cmp_le_u32_e32 vcc, v36, v47
	v_cmp_le_u32_e64 s[6:7], v38, v47
	v_cmp_le_u32_e64 s[8:9], v40, v47
	v_cndmask_b32_e32 v24, v18, v48, vcc
	v_cndmask_b32_e32 v31, v19, v31, vcc
	ds_bpermute_b32 v48, v37, v24
	ds_bpermute_b32 v49, v37, v31
	v_cndmask_b32_e32 v30, v18, v30, vcc
	v_cmp_le_u32_e64 s[10:11], v42, v47
	s_waitcnt lgkmcnt(0)
	v_lshl_add_u64 v[48:49], v[48:49], 0, v[30:31]
	v_cndmask_b32_e64 v24, v24, v48, s[6:7]
	v_cndmask_b32_e64 v31, v31, v49, s[6:7]
	ds_bpermute_b32 v50, v39, v24
	ds_bpermute_b32 v51, v39, v31
	v_cndmask_b32_e64 v30, v30, v48, s[6:7]
	s_or_b64 s[6:7], vcc, s[6:7]
	v_cmp_le_u32_e32 vcc, v44, v47
	s_or_b64 s[6:7], s[8:9], s[6:7]
	s_waitcnt lgkmcnt(0)
	v_lshl_add_u64 v[48:49], v[50:51], 0, v[30:31]
	v_cndmask_b32_e64 v24, v24, v48, s[8:9]
	v_cndmask_b32_e64 v31, v31, v49, s[8:9]
	ds_bpermute_b32 v50, v41, v24
	ds_bpermute_b32 v51, v41, v31
	v_cndmask_b32_e64 v30, v30, v48, s[8:9]
	s_or_b64 s[6:7], s[10:11], s[6:7]
	s_or_b64 s[6:7], vcc, s[6:7]
	s_waitcnt lgkmcnt(0)
	v_lshl_add_u64 v[48:49], v[50:51], 0, v[30:31]
	v_cndmask_b32_e64 v24, v24, v48, s[10:11]
	v_cndmask_b32_e64 v31, v31, v49, s[10:11]
	ds_bpermute_b32 v50, v43, v24
	ds_bpermute_b32 v51, v43, v31
	v_cndmask_b32_e64 v30, v30, v48, s[10:11]
	s_waitcnt lgkmcnt(0)
	v_lshl_add_u64 v[48:49], v[50:51], 0, v[30:31]
	v_cndmask_b32_e32 v24, v24, v48, vcc
	v_cndmask_b32_e32 v31, v31, v49, vcc
	ds_bpermute_b32 v49, v45, v31
	ds_bpermute_b32 v24, v45, v24
	v_cndmask_b32_e32 v30, v30, v48, vcc
	v_cmp_le_u32_e32 vcc, v46, v47
	s_waitcnt lgkmcnt(1)
	s_nop 0
	v_cndmask_b32_e32 v49, 0, v49, vcc
	s_waitcnt lgkmcnt(0)
	v_cndmask_b32_e32 v48, 0, v24, vcc
	v_lshl_add_u64 v[30:31], v[48:49], 0, v[30:31]
	s_or_b64 vcc, vcc, s[6:7]
	v_cndmask_b32_e32 v19, v19, v31, vcc
	v_cndmask_b32_e32 v18, v18, v30, vcc
	v_lshl_add_u64 v[18:19], v[18:19], 0, v[28:29]
	s_mov_b64 s[6:7], 0
	v_mov_b32_e32 v24, v21
.LBB9_35:                               ;   in Loop: Header=BB9_36 Depth=1
	s_and_b64 vcc, exec, s[6:7]
	s_cbranch_vccnz .LBB9_41
.LBB9_36:                               ; =>This Loop Header: Depth=1
                                        ;     Child Loop BB9_39 Depth 2
	v_cmp_ne_u16_sdwa s[6:7], v20, v34 src0_sel:BYTE_0 src1_sel:DWORD
	v_mov_b64_e32 v[28:29], v[18:19]
	s_cmp_lg_u64 s[6:7], exec
	s_mov_b64 s[6:7], -1
                                        ; implicit-def: $vgpr18_vgpr19
                                        ; implicit-def: $vgpr20
	s_cbranch_scc1 .LBB9_35
; %bb.37:                               ;   in Loop: Header=BB9_36 Depth=1
	v_lshl_add_u64 v[30:31], v[24:25], 4, s[12:13]
	;;#ASMSTART
	global_load_dwordx4 v[18:21], v[30:31] off sc1	
s_waitcnt vmcnt(0)
	;;#ASMEND
	s_nop 0
	v_cmp_eq_u16_sdwa s[8:9], v20, v25 src0_sel:BYTE_0 src1_sel:DWORD
	s_and_saveexec_b64 s[6:7], s[8:9]
	s_cbranch_execz .LBB9_34
; %bb.38:                               ;   in Loop: Header=BB9_36 Depth=1
	s_mov_b64 s[8:9], 0
.LBB9_39:                               ;   Parent Loop BB9_36 Depth=1
                                        ; =>  This Inner Loop Header: Depth=2
	;;#ASMSTART
	global_load_dwordx4 v[18:21], v[30:31] off sc1	
s_waitcnt vmcnt(0)
	;;#ASMEND
	s_nop 0
	v_cmp_ne_u16_sdwa s[10:11], v20, v25 src0_sel:BYTE_0 src1_sel:DWORD
	s_or_b64 s[8:9], s[10:11], s[8:9]
	s_andn2_b64 exec, exec, s[8:9]
	s_cbranch_execnz .LBB9_39
	s_branch .LBB9_33
.LBB9_40:
                                        ; implicit-def: $vgpr16_vgpr17
                                        ; implicit-def: $vgpr20_vgpr21
                                        ; implicit-def: $vgpr24_vgpr25
	s_load_dwordx4 s[8:11], s[0:1], 0x38
	s_cbranch_execnz .LBB9_46
	s_branch .LBB9_59
.LBB9_41:
	s_and_saveexec_b64 s[6:7], s[4:5]
	s_cbranch_execz .LBB9_43
; %bb.42:
	s_add_i32 s2, s2, 64
	s_mov_b32 s3, 0
	s_lshl_b64 s[2:3], s[2:3], 4
	s_add_u32 s2, s12, s2
	s_addc_u32 s3, s13, s3
	v_lshl_add_u64 v[14:15], v[28:29], 0, v[14:15]
	v_mov_b32_e32 v16, 2
	v_mov_b32_e32 v17, 0
	v_mov_b64_e32 v[18:19], s[2:3]
	;;#ASMSTART
	global_store_dwordx4 v[18:19], v[14:17] off sc1	
s_waitcnt vmcnt(0)
	;;#ASMEND
.LBB9_43:
	s_or_b64 exec, exec, s[6:7]
	v_cmp_eq_u32_e32 vcc, 0, v0
	s_and_b64 exec, exec, vcc
; %bb.44:
	v_mov_b32_e32 v14, 0
	ds_write_b64 v14, v[28:29] offset:24
.LBB9_45:
	s_or_b64 exec, exec, s[14:15]
	v_mov_b32_e32 v14, 0
	s_waitcnt lgkmcnt(0)
	s_barrier
	ds_read_b64 v[14:15], v14 offset:24
	v_cndmask_b32_e64 v16, v32, v22, s[4:5]
	v_cndmask_b32_e64 v17, v33, v23, s[4:5]
	v_cmp_ne_u32_e32 vcc, 0, v0
	s_nop 1
	v_cndmask_b32_e32 v17, 0, v17, vcc
	v_cndmask_b32_e32 v16, 0, v16, vcc
	v_lshl_add_u64 v[16:17], v[16:17], 0, v[10:11]
	s_waitcnt lgkmcnt(0)
	v_lshl_add_u64 v[22:23], v[16:17], 0, v[14:15]
	v_lshl_add_u64 v[24:25], v[22:23], 0, v[12:13]
	;; [unrolled: 1-line block ×6, first 2 shown]
	s_load_dwordx4 s[8:11], s[0:1], 0x38
	s_branch .LBB9_59
.LBB9_46:
	s_load_dword s2, s[0:1], 0x48
	v_cmp_eq_u32_e32 vcc, 0, v0
	s_waitcnt lgkmcnt(0)
	s_bitcmp1_b32 s2, 0
	s_cselect_b64 s[2:3], -1, 0
	s_and_b64 s[4:5], vcc, s[2:3]
	s_and_saveexec_b64 s[2:3], s[4:5]
	s_cbranch_execz .LBB9_48
; %bb.47:
	v_mov_b32_e32 v14, 0
	global_load_dwordx2 v[14:15], v14, s[8:9]
	s_waitcnt vmcnt(0)
	v_lshl_add_u64 v[10:11], v[14:15], 0, v[10:11]
.LBB9_48:
	s_or_b64 exec, exec, s[2:3]
	v_lshl_add_u64 v[14:15], v[12:13], 0, v[10:11]
	v_lshl_add_u64 v[14:15], v[14:15], 0, v[6:7]
	;; [unrolled: 1-line block ×5, first 2 shown]
	v_mov_b32_e32 v18, 0
	v_mbcnt_hi_u32_b32 v20, -1, v27
	v_mov_b32_dpp v16, v14 row_shr:1 row_mask:0xf bank_mask:0xf
	v_mov_b32_e32 v17, v18
	v_and_b32_e32 v21, 15, v20
	v_mov_b32_dpp v19, v15 row_shr:1 row_mask:0xf bank_mask:0xf
	v_lshl_add_u64 v[16:17], v[14:15], 0, v[16:17]
	v_lshl_add_u64 v[18:19], v[16:17], 0, v[18:19]
	v_cmp_eq_u32_e64 s[2:3], 0, v21
	v_cmp_ne_u32_e64 s[6:7], 0, v20
	s_nop 0
	v_cndmask_b32_e64 v22, v16, v14, s[2:3]
	v_cndmask_b32_e64 v17, v19, v15, s[2:3]
	v_cndmask_b32_e64 v16, v18, v14, s[2:3]
	v_mov_b32_dpp v18, v22 row_shr:2 row_mask:0xf bank_mask:0xf
	v_mov_b32_dpp v19, v17 row_shr:2 row_mask:0xf bank_mask:0xf
	v_lshl_add_u64 v[18:19], v[18:19], 0, v[16:17]
	v_cmp_lt_u32_e64 s[2:3], 1, v21
	s_nop 1
	v_cndmask_b32_e64 v22, v22, v18, s[2:3]
	v_cndmask_b32_e64 v17, v17, v19, s[2:3]
	v_cndmask_b32_e64 v16, v16, v18, s[2:3]
	v_mov_b32_dpp v18, v22 row_shr:4 row_mask:0xf bank_mask:0xf
	v_mov_b32_dpp v19, v17 row_shr:4 row_mask:0xf bank_mask:0xf
	v_lshl_add_u64 v[18:19], v[18:19], 0, v[16:17]
	v_cmp_lt_u32_e64 s[2:3], 3, v21
	;; [unrolled: 8-line block ×3, first 2 shown]
	s_nop 1
	v_cndmask_b32_e64 v21, v22, v18, s[2:3]
	v_cndmask_b32_e64 v17, v17, v19, s[2:3]
	;; [unrolled: 1-line block ×3, first 2 shown]
	v_mov_b32_dpp v18, v21 row_bcast:15 row_mask:0xf bank_mask:0xf
	v_mov_b32_dpp v19, v17 row_bcast:15 row_mask:0xf bank_mask:0xf
	v_and_b32_e32 v22, 16, v20
	v_lshl_add_u64 v[18:19], v[18:19], 0, v[16:17]
	v_cmp_eq_u32_e64 s[4:5], 0, v22
	v_cmp_eq_u32_e64 s[2:3], 0, v20
	s_nop 0
	v_cndmask_b32_e64 v22, v19, v17, s[4:5]
	v_cndmask_b32_e64 v21, v18, v21, s[4:5]
	s_nop 0
	v_mov_b32_dpp v22, v22 row_bcast:31 row_mask:0xf bank_mask:0xf
	v_mov_b32_dpp v21, v21 row_bcast:31 row_mask:0xf bank_mask:0xf
	s_and_saveexec_b64 s[8:9], s[6:7]
; %bb.49:
	v_cndmask_b32_e64 v15, v19, v17, s[4:5]
	v_cndmask_b32_e64 v14, v18, v16, s[4:5]
	v_cmp_lt_u32_e64 s[4:5], 31, v20
	s_nop 1
	v_cndmask_b32_e64 v17, 0, v22, s[4:5]
	v_cndmask_b32_e64 v16, 0, v21, s[4:5]
	v_lshl_add_u64 v[14:15], v[16:17], 0, v[14:15]
; %bb.50:
	s_or_b64 exec, exec, s[8:9]
	v_or_b32_e32 v16, 63, v0
	v_lshrrev_b32_e32 v18, 6, v0
	v_cmp_eq_u32_e64 s[4:5], v0, v16
	s_and_saveexec_b64 s[6:7], s[4:5]
; %bb.51:
	v_lshlrev_b32_e32 v16, 3, v18
	ds_write_b64 v16, v[14:15]
; %bb.52:
	s_or_b64 exec, exec, s[6:7]
	v_cmp_gt_u32_e64 s[4:5], 4, v0
	s_waitcnt lgkmcnt(0)
	s_barrier
	s_and_saveexec_b64 s[6:7], s[4:5]
	s_cbranch_execz .LBB9_54
; %bb.53:
	s_movk_i32 s4, 0xffd8
	v_mad_i32_i24 v19, v0, s4, v1
	ds_read_b64 v[16:17], v19
	v_mov_b32_e32 v22, 0
	v_mov_b32_e32 v25, v22
	v_and_b32_e32 v21, 3, v20
	v_cmp_eq_u32_e64 s[4:5], 0, v21
	s_waitcnt lgkmcnt(0)
	v_mov_b32_dpp v24, v16 row_shr:1 row_mask:0xf bank_mask:0xf
	v_mov_b32_dpp v23, v17 row_shr:1 row_mask:0xf bank_mask:0xf
	v_lshl_add_u64 v[24:25], v[16:17], 0, v[24:25]
	v_lshl_add_u64 v[22:23], v[22:23], 0, v[24:25]
	v_cndmask_b32_e64 v23, v23, v17, s[4:5]
	v_cndmask_b32_e64 v22, v22, v16, s[4:5]
	;; [unrolled: 1-line block ×3, first 2 shown]
	v_mov_b32_dpp v17, v23 row_shr:2 row_mask:0xf bank_mask:0xf
	v_cmp_lt_u32_e64 s[4:5], 1, v21
	v_mov_b32_dpp v16, v16 row_shr:2 row_mask:0xf bank_mask:0xf
	s_nop 0
	v_cndmask_b32_e64 v16, 0, v16, s[4:5]
	v_cndmask_b32_e64 v17, 0, v17, s[4:5]
	v_lshl_add_u64 v[16:17], v[16:17], 0, v[22:23]
	ds_write_b64 v19, v[16:17]
.LBB9_54:
	s_or_b64 exec, exec, s[6:7]
	v_cmp_lt_u32_e64 s[4:5], 63, v0
	s_waitcnt lgkmcnt(0)
	s_barrier
                                        ; implicit-def: $vgpr16_vgpr17
	s_and_saveexec_b64 s[6:7], s[4:5]
	s_cbranch_execz .LBB9_56
; %bb.55:
	v_lshl_add_u32 v16, v18, 3, -8
	ds_read_b64 v[16:17], v16
	s_waitcnt lgkmcnt(0)
	v_lshl_add_u64 v[14:15], v[16:17], 0, v[14:15]
.LBB9_56:
	s_or_b64 exec, exec, s[6:7]
	v_add_u32_e32 v18, -1, v20
	v_and_b32_e32 v19, 64, v20
	v_cmp_lt_i32_e64 s[4:5], v18, v19
	s_nop 1
	v_cndmask_b32_e64 v18, v18, v20, s[4:5]
	v_lshlrev_b32_e32 v18, 2, v18
	ds_bpermute_b32 v14, v18, v14
	ds_bpermute_b32 v15, v18, v15
	s_waitcnt lgkmcnt(1)
	v_cndmask_b32_e64 v14, v14, v16, s[2:3]
	s_waitcnt lgkmcnt(0)
	v_cndmask_b32_e64 v15, v15, v17, s[2:3]
	v_cndmask_b32_e64 v15, v15, 0, vcc
	v_cndmask_b32_e64 v14, v14, 0, vcc
	v_lshl_add_u64 v[22:23], v[14:15], 0, v[10:11]
	v_lshl_add_u64 v[24:25], v[22:23], 0, v[12:13]
	;; [unrolled: 1-line block ×5, first 2 shown]
	s_and_saveexec_b64 s[2:3], vcc
	s_cbranch_execz .LBB9_58
; %bb.57:
	s_add_u32 s4, s12, 0x400
	v_mov_b32_e32 v9, 0
	s_addc_u32 s5, s13, 0
	ds_read_b64 v[6:7], v9 offset:24
	v_mov_b32_e32 v8, 2
	v_mov_b64_e32 v[2:3], s[4:5]
	s_waitcnt lgkmcnt(0)
	;;#ASMSTART
	global_store_dwordx4 v[2:3], v[6:9] off sc1	
s_waitcnt vmcnt(0)
	;;#ASMEND
.LBB9_58:
	s_or_b64 exec, exec, s[2:3]
	v_lshl_add_u64 v[16:17], v[14:15], 0, v[4:5]
.LBB9_59:
	s_add_u32 s2, s22, s26
	s_addc_u32 s3, s23, s27
	s_mov_b64 s[4:5], -1
	s_and_b64 vcc, exec, s[24:25]
	s_waitcnt lgkmcnt(0)
	s_barrier
	s_cbranch_vccz .LBB9_61
; %bb.60:
	ds_write_b128 v1, v[22:25]
	ds_write_b128 v1, v[18:21] offset:16
	ds_write_b128 v1, v[14:17] offset:32
	s_waitcnt lgkmcnt(0)
	s_barrier
	ds_read2st64_b64 v[2:5], v26 offset1:4
	ds_read2st64_b64 v[6:9], v26 offset0:8 offset1:12
	ds_read2st64_b64 v[10:13], v26 offset0:16 offset1:20
	v_mov_b32_e32 v27, 0
	v_lshl_add_u64 v[28:29], s[2:3], 0, v[26:27]
	s_waitcnt lgkmcnt(2)
	global_store_dwordx2 v26, v[2:3], s[2:3]
	global_store_dwordx2 v26, v[4:5], s[2:3] offset:2048
	v_add_co_u32_e32 v2, vcc, 0x1000, v28
	s_mov_b64 s[4:5], 0
	s_nop 0
	v_addc_co_u32_e32 v3, vcc, 0, v29, vcc
	s_waitcnt lgkmcnt(1)
	global_store_dwordx2 v[2:3], v[6:7], off
	global_store_dwordx2 v[2:3], v[8:9], off offset:2048
	v_add_co_u32_e32 v2, vcc, 0x2000, v28
	s_nop 1
	v_addc_co_u32_e32 v3, vcc, 0, v29, vcc
	s_waitcnt lgkmcnt(0)
	global_store_dwordx2 v[2:3], v[10:11], off
	global_store_dwordx2 v[2:3], v[12:13], off offset:2048
.LBB9_61:
	s_andn2_b64 vcc, exec, s[4:5]
	s_cbranch_vccnz .LBB9_94
; %bb.62:
	ds_write_b128 v1, v[22:25]
	ds_write_b128 v1, v[18:21] offset:16
	ds_write_b128 v1, v[14:17] offset:32
	s_waitcnt lgkmcnt(0)
	s_barrier
	ds_read2st64_b64 v[4:7], v26 offset1:4
	ds_read2st64_b64 v[8:11], v26 offset0:8 offset1:12
	ds_read2st64_b64 v[12:15], v26 offset0:16 offset1:20
	v_mov_b32_e32 v27, 0
	v_lshl_add_u64 v[2:3], s[2:3], 0, v[26:27]
	v_cmp_gt_u32_e32 vcc, s28, v0
	s_and_saveexec_b64 s[2:3], vcc
	s_cbranch_execz .LBB9_64
; %bb.63:
	s_waitcnt lgkmcnt(2)
	global_store_dwordx2 v[2:3], v[4:5], off
.LBB9_64:
	s_or_b64 exec, exec, s[2:3]
	v_or_b32_e32 v1, 0x100, v0
	v_cmp_gt_u32_e32 vcc, s28, v1
	s_and_saveexec_b64 s[2:3], vcc
	s_cbranch_execz .LBB9_66
; %bb.65:
	s_waitcnt lgkmcnt(2)
	global_store_dwordx2 v[2:3], v[6:7], off offset:2048
.LBB9_66:
	s_or_b64 exec, exec, s[2:3]
	v_or_b32_e32 v1, 0x200, v0
	v_cmp_gt_u32_e32 vcc, s28, v1
	s_and_saveexec_b64 s[2:3], vcc
	s_cbranch_execz .LBB9_68
; %bb.67:
	v_add_co_u32_e32 v16, vcc, 0x1000, v2
	s_nop 1
	v_addc_co_u32_e32 v17, vcc, 0, v3, vcc
	s_waitcnt lgkmcnt(1)
	global_store_dwordx2 v[16:17], v[8:9], off
.LBB9_68:
	s_or_b64 exec, exec, s[2:3]
	v_or_b32_e32 v1, 0x300, v0
	v_cmp_gt_u32_e32 vcc, s28, v1
	s_and_saveexec_b64 s[2:3], vcc
	s_cbranch_execz .LBB9_70
; %bb.69:
	v_add_co_u32_e32 v16, vcc, 0x1000, v2
	s_nop 1
	v_addc_co_u32_e32 v17, vcc, 0, v3, vcc
	s_waitcnt lgkmcnt(1)
	global_store_dwordx2 v[16:17], v[10:11], off offset:2048
.LBB9_70:
	s_or_b64 exec, exec, s[2:3]
	v_or_b32_e32 v1, 0x400, v0
	v_cmp_gt_u32_e32 vcc, s28, v1
	s_and_saveexec_b64 s[2:3], vcc
	s_cbranch_execz .LBB9_72
; %bb.71:
	v_add_co_u32_e32 v16, vcc, 0x2000, v2
	s_nop 1
	v_addc_co_u32_e32 v17, vcc, 0, v3, vcc
	s_waitcnt lgkmcnt(0)
	global_store_dwordx2 v[16:17], v[12:13], off
.LBB9_72:
	s_or_b64 exec, exec, s[2:3]
	v_or_b32_e32 v1, 0x500, v0
	v_cmp_gt_u32_e32 vcc, s28, v1
	s_and_saveexec_b64 s[2:3], vcc
	s_cbranch_execz .LBB9_74
; %bb.73:
	v_add_co_u32_e32 v2, vcc, 0x2000, v2
	s_nop 1
	v_addc_co_u32_e32 v3, vcc, 0, v3, vcc
	s_waitcnt lgkmcnt(0)
	global_store_dwordx2 v[2:3], v[14:15], off offset:2048
.LBB9_74:
	s_or_b64 exec, exec, s[2:3]
	s_load_dword s0, s[0:1], 0x48
	s_waitcnt lgkmcnt(0)
	s_bfe_u32 s0, s0, 0x10008
	s_cmp_eq_u32 s0, 0
	s_cbranch_scc1 .LBB9_94
; %bb.75:
	s_add_u32 s0, s28, -1
	s_addc_u32 s1, s29, -1
	s_mul_i32 s5, s1, 0xaaaaaaab
	s_mul_hi_u32 s6, s0, 0xaaaaaaab
	s_mul_hi_u32 s4, s1, 0xaaaaaaab
	s_add_u32 s5, s5, s6
	s_mul_i32 s3, s0, 0xaaaaaaaa
	s_addc_u32 s4, s4, 0
	s_mul_hi_u32 s2, s0, 0xaaaaaaaa
	s_add_u32 s3, s3, s5
	s_addc_u32 s2, s2, 0
	s_add_u32 s2, s4, s2
	s_addc_u32 s3, 0, 0
	s_mul_i32 s5, s1, 0xaaaaaaaa
	s_mul_hi_u32 s4, s1, 0xaaaaaaaa
	s_add_u32 s2, s5, s2
	s_addc_u32 s3, s4, s3
	v_mov_b32_e32 v1, v27
	s_lshr_b64 s[2:3], s[2:3], 2
	v_cmp_eq_u64_e32 vcc, s[2:3], v[0:1]
	s_and_saveexec_b64 s[2:3], vcc
	s_cbranch_execz .LBB9_94
; %bb.76:
	v_mul_hi_u32_u24_e32 v1, 6, v0
	v_mul_u32_u24_e32 v0, 6, v0
	v_mov_b32_e32 v2, s1
	v_sub_co_u32_e32 v0, vcc, s0, v0
	s_nop 1
	v_subb_co_u32_e32 v1, vcc, v2, v1, vcc
	v_cmp_lt_i64_e32 vcc, 2, v[0:1]
	s_and_saveexec_b64 s[0:1], vcc
	s_xor_b64 s[0:1], exec, s[0:1]
	s_cbranch_execz .LBB9_86
; %bb.77:
	v_cmp_lt_i64_e32 vcc, 3, v[0:1]
	s_and_saveexec_b64 s[2:3], vcc
	s_xor_b64 s[2:3], exec, s[2:3]
	s_cbranch_execz .LBB9_83
; %bb.78:
	;; [unrolled: 5-line block ×3, first 2 shown]
	v_mov_b32_e32 v0, 0
	global_store_dwordx2 v0, v[14:15], s[10:11]
                                        ; implicit-def: $vgpr12_vgpr13_vgpr14_vgpr15
.LBB9_80:
	s_andn2_saveexec_b64 s[4:5], s[4:5]
	s_cbranch_execz .LBB9_82
; %bb.81:
	v_mov_b32_e32 v0, 0
	global_store_dwordx2 v0, v[12:13], s[10:11]
.LBB9_82:
	s_or_b64 exec, exec, s[4:5]
                                        ; implicit-def: $vgpr8_vgpr9_vgpr10_vgpr11
.LBB9_83:
	s_andn2_saveexec_b64 s[2:3], s[2:3]
	s_cbranch_execz .LBB9_85
; %bb.84:
	v_mov_b32_e32 v0, 0
	global_store_dwordx2 v0, v[10:11], s[10:11]
.LBB9_85:
	s_or_b64 exec, exec, s[2:3]
                                        ; implicit-def: $vgpr0_vgpr1
                                        ; implicit-def: $vgpr8_vgpr9_vgpr10_vgpr11
                                        ; implicit-def: $vgpr4_vgpr5_vgpr6_vgpr7
.LBB9_86:
	s_andn2_saveexec_b64 s[0:1], s[0:1]
	s_cbranch_execz .LBB9_94
; %bb.87:
	v_cmp_lt_i64_e32 vcc, 1, v[0:1]
	s_and_saveexec_b64 s[0:1], vcc
	s_xor_b64 s[0:1], exec, s[0:1]
	s_cbranch_execz .LBB9_89
; %bb.88:
	v_mov_b32_e32 v0, 0
	global_store_dwordx2 v0, v[8:9], s[10:11]
                                        ; implicit-def: $vgpr4_vgpr5_vgpr6_vgpr7
                                        ; implicit-def: $vgpr0_vgpr1
.LBB9_89:
	s_andn2_saveexec_b64 s[0:1], s[0:1]
	s_cbranch_execz .LBB9_94
; %bb.90:
	v_cmp_ne_u64_e32 vcc, 1, v[0:1]
	s_and_saveexec_b64 s[0:1], vcc
	s_xor_b64 s[0:1], exec, s[0:1]
	s_cbranch_execz .LBB9_92
; %bb.91:
	v_mov_b32_e32 v0, 0
	global_store_dwordx2 v0, v[4:5], s[10:11]
                                        ; implicit-def: $vgpr4_vgpr5_vgpr6_vgpr7
.LBB9_92:
	s_andn2_saveexec_b64 s[0:1], s[0:1]
	s_cbranch_execz .LBB9_94
; %bb.93:
	v_mov_b32_e32 v0, 0
	global_store_dwordx2 v0, v[6:7], s[10:11]
.LBB9_94:
	s_endpgm
	.section	.rodata,"a",@progbits
	.p2align	6, 0x0
	.amdhsa_kernel _ZN7rocprim17ROCPRIM_304000_NS6detail20lookback_scan_kernelILNS1_25lookback_scan_determinismE0ELb0ENS1_19wrapped_scan_configINS0_14default_configElEEPKlPlSt4plusIvEllNS1_19lookback_scan_stateIlLb0ELb1EEEEEvT2_T3_mT5_T4_T7_jPT6_SK_bb
		.amdhsa_group_segment_fixed_size 12288
		.amdhsa_private_segment_fixed_size 0
		.amdhsa_kernarg_size 76
		.amdhsa_user_sgpr_count 2
		.amdhsa_user_sgpr_dispatch_ptr 0
		.amdhsa_user_sgpr_queue_ptr 0
		.amdhsa_user_sgpr_kernarg_segment_ptr 1
		.amdhsa_user_sgpr_dispatch_id 0
		.amdhsa_user_sgpr_kernarg_preload_length 0
		.amdhsa_user_sgpr_kernarg_preload_offset 0
		.amdhsa_user_sgpr_private_segment_size 0
		.amdhsa_uses_dynamic_stack 0
		.amdhsa_enable_private_segment 0
		.amdhsa_system_sgpr_workgroup_id_x 1
		.amdhsa_system_sgpr_workgroup_id_y 0
		.amdhsa_system_sgpr_workgroup_id_z 0
		.amdhsa_system_sgpr_workgroup_info 0
		.amdhsa_system_vgpr_workitem_id 0
		.amdhsa_next_free_vgpr 52
		.amdhsa_next_free_sgpr 30
		.amdhsa_accum_offset 52
		.amdhsa_reserve_vcc 1
		.amdhsa_float_round_mode_32 0
		.amdhsa_float_round_mode_16_64 0
		.amdhsa_float_denorm_mode_32 3
		.amdhsa_float_denorm_mode_16_64 3
		.amdhsa_dx10_clamp 1
		.amdhsa_ieee_mode 1
		.amdhsa_fp16_overflow 0
		.amdhsa_tg_split 0
		.amdhsa_exception_fp_ieee_invalid_op 0
		.amdhsa_exception_fp_denorm_src 0
		.amdhsa_exception_fp_ieee_div_zero 0
		.amdhsa_exception_fp_ieee_overflow 0
		.amdhsa_exception_fp_ieee_underflow 0
		.amdhsa_exception_fp_ieee_inexact 0
		.amdhsa_exception_int_div_zero 0
	.end_amdhsa_kernel
	.section	.text._ZN7rocprim17ROCPRIM_304000_NS6detail20lookback_scan_kernelILNS1_25lookback_scan_determinismE0ELb0ENS1_19wrapped_scan_configINS0_14default_configElEEPKlPlSt4plusIvEllNS1_19lookback_scan_stateIlLb0ELb1EEEEEvT2_T3_mT5_T4_T7_jPT6_SK_bb,"axG",@progbits,_ZN7rocprim17ROCPRIM_304000_NS6detail20lookback_scan_kernelILNS1_25lookback_scan_determinismE0ELb0ENS1_19wrapped_scan_configINS0_14default_configElEEPKlPlSt4plusIvEllNS1_19lookback_scan_stateIlLb0ELb1EEEEEvT2_T3_mT5_T4_T7_jPT6_SK_bb,comdat
.Lfunc_end9:
	.size	_ZN7rocprim17ROCPRIM_304000_NS6detail20lookback_scan_kernelILNS1_25lookback_scan_determinismE0ELb0ENS1_19wrapped_scan_configINS0_14default_configElEEPKlPlSt4plusIvEllNS1_19lookback_scan_stateIlLb0ELb1EEEEEvT2_T3_mT5_T4_T7_jPT6_SK_bb, .Lfunc_end9-_ZN7rocprim17ROCPRIM_304000_NS6detail20lookback_scan_kernelILNS1_25lookback_scan_determinismE0ELb0ENS1_19wrapped_scan_configINS0_14default_configElEEPKlPlSt4plusIvEllNS1_19lookback_scan_stateIlLb0ELb1EEEEEvT2_T3_mT5_T4_T7_jPT6_SK_bb
                                        ; -- End function
	.set _ZN7rocprim17ROCPRIM_304000_NS6detail20lookback_scan_kernelILNS1_25lookback_scan_determinismE0ELb0ENS1_19wrapped_scan_configINS0_14default_configElEEPKlPlSt4plusIvEllNS1_19lookback_scan_stateIlLb0ELb1EEEEEvT2_T3_mT5_T4_T7_jPT6_SK_bb.num_vgpr, 52
	.set _ZN7rocprim17ROCPRIM_304000_NS6detail20lookback_scan_kernelILNS1_25lookback_scan_determinismE0ELb0ENS1_19wrapped_scan_configINS0_14default_configElEEPKlPlSt4plusIvEllNS1_19lookback_scan_stateIlLb0ELb1EEEEEvT2_T3_mT5_T4_T7_jPT6_SK_bb.num_agpr, 0
	.set _ZN7rocprim17ROCPRIM_304000_NS6detail20lookback_scan_kernelILNS1_25lookback_scan_determinismE0ELb0ENS1_19wrapped_scan_configINS0_14default_configElEEPKlPlSt4plusIvEllNS1_19lookback_scan_stateIlLb0ELb1EEEEEvT2_T3_mT5_T4_T7_jPT6_SK_bb.numbered_sgpr, 30
	.set _ZN7rocprim17ROCPRIM_304000_NS6detail20lookback_scan_kernelILNS1_25lookback_scan_determinismE0ELb0ENS1_19wrapped_scan_configINS0_14default_configElEEPKlPlSt4plusIvEllNS1_19lookback_scan_stateIlLb0ELb1EEEEEvT2_T3_mT5_T4_T7_jPT6_SK_bb.num_named_barrier, 0
	.set _ZN7rocprim17ROCPRIM_304000_NS6detail20lookback_scan_kernelILNS1_25lookback_scan_determinismE0ELb0ENS1_19wrapped_scan_configINS0_14default_configElEEPKlPlSt4plusIvEllNS1_19lookback_scan_stateIlLb0ELb1EEEEEvT2_T3_mT5_T4_T7_jPT6_SK_bb.private_seg_size, 0
	.set _ZN7rocprim17ROCPRIM_304000_NS6detail20lookback_scan_kernelILNS1_25lookback_scan_determinismE0ELb0ENS1_19wrapped_scan_configINS0_14default_configElEEPKlPlSt4plusIvEllNS1_19lookback_scan_stateIlLb0ELb1EEEEEvT2_T3_mT5_T4_T7_jPT6_SK_bb.uses_vcc, 1
	.set _ZN7rocprim17ROCPRIM_304000_NS6detail20lookback_scan_kernelILNS1_25lookback_scan_determinismE0ELb0ENS1_19wrapped_scan_configINS0_14default_configElEEPKlPlSt4plusIvEllNS1_19lookback_scan_stateIlLb0ELb1EEEEEvT2_T3_mT5_T4_T7_jPT6_SK_bb.uses_flat_scratch, 0
	.set _ZN7rocprim17ROCPRIM_304000_NS6detail20lookback_scan_kernelILNS1_25lookback_scan_determinismE0ELb0ENS1_19wrapped_scan_configINS0_14default_configElEEPKlPlSt4plusIvEllNS1_19lookback_scan_stateIlLb0ELb1EEEEEvT2_T3_mT5_T4_T7_jPT6_SK_bb.has_dyn_sized_stack, 0
	.set _ZN7rocprim17ROCPRIM_304000_NS6detail20lookback_scan_kernelILNS1_25lookback_scan_determinismE0ELb0ENS1_19wrapped_scan_configINS0_14default_configElEEPKlPlSt4plusIvEllNS1_19lookback_scan_stateIlLb0ELb1EEEEEvT2_T3_mT5_T4_T7_jPT6_SK_bb.has_recursion, 0
	.set _ZN7rocprim17ROCPRIM_304000_NS6detail20lookback_scan_kernelILNS1_25lookback_scan_determinismE0ELb0ENS1_19wrapped_scan_configINS0_14default_configElEEPKlPlSt4plusIvEllNS1_19lookback_scan_stateIlLb0ELb1EEEEEvT2_T3_mT5_T4_T7_jPT6_SK_bb.has_indirect_call, 0
	.section	.AMDGPU.csdata,"",@progbits
; Kernel info:
; codeLenInByte = 4928
; TotalNumSgprs: 36
; NumVgprs: 52
; NumAgprs: 0
; TotalNumVgprs: 52
; ScratchSize: 0
; MemoryBound: 1
; FloatMode: 240
; IeeeMode: 1
; LDSByteSize: 12288 bytes/workgroup (compile time only)
; SGPRBlocks: 4
; VGPRBlocks: 6
; NumSGPRsForWavesPerEU: 36
; NumVGPRsForWavesPerEU: 52
; AccumOffset: 52
; Occupancy: 8
; WaveLimiterHint : 1
; COMPUTE_PGM_RSRC2:SCRATCH_EN: 0
; COMPUTE_PGM_RSRC2:USER_SGPR: 2
; COMPUTE_PGM_RSRC2:TRAP_HANDLER: 0
; COMPUTE_PGM_RSRC2:TGID_X_EN: 1
; COMPUTE_PGM_RSRC2:TGID_Y_EN: 0
; COMPUTE_PGM_RSRC2:TGID_Z_EN: 0
; COMPUTE_PGM_RSRC2:TIDIG_COMP_CNT: 0
; COMPUTE_PGM_RSRC3_GFX90A:ACCUM_OFFSET: 12
; COMPUTE_PGM_RSRC3_GFX90A:TG_SPLIT: 0
	.section	.text._ZN7rocprim17ROCPRIM_304000_NS6detail16transform_kernelINS1_24wrapped_transform_configINS0_14default_configElEElPlS6_NS0_8identityIlEEEEvT1_mT2_T3_,"axG",@progbits,_ZN7rocprim17ROCPRIM_304000_NS6detail16transform_kernelINS1_24wrapped_transform_configINS0_14default_configElEElPlS6_NS0_8identityIlEEEEvT1_mT2_T3_,comdat
	.protected	_ZN7rocprim17ROCPRIM_304000_NS6detail16transform_kernelINS1_24wrapped_transform_configINS0_14default_configElEElPlS6_NS0_8identityIlEEEEvT1_mT2_T3_ ; -- Begin function _ZN7rocprim17ROCPRIM_304000_NS6detail16transform_kernelINS1_24wrapped_transform_configINS0_14default_configElEElPlS6_NS0_8identityIlEEEEvT1_mT2_T3_
	.globl	_ZN7rocprim17ROCPRIM_304000_NS6detail16transform_kernelINS1_24wrapped_transform_configINS0_14default_configElEElPlS6_NS0_8identityIlEEEEvT1_mT2_T3_
	.p2align	8
	.type	_ZN7rocprim17ROCPRIM_304000_NS6detail16transform_kernelINS1_24wrapped_transform_configINS0_14default_configElEElPlS6_NS0_8identityIlEEEEvT1_mT2_T3_,@function
_ZN7rocprim17ROCPRIM_304000_NS6detail16transform_kernelINS1_24wrapped_transform_configINS0_14default_configElEElPlS6_NS0_8identityIlEEEEvT1_mT2_T3_: ; @_ZN7rocprim17ROCPRIM_304000_NS6detail16transform_kernelINS1_24wrapped_transform_configINS0_14default_configElEElPlS6_NS0_8identityIlEEEEvT1_mT2_T3_
; %bb.0:
	s_load_dword s3, s[0:1], 0x20
	s_load_dwordx4 s[4:7], s[0:1], 0x0
	s_lshl_b32 s8, s2, 7
	s_waitcnt lgkmcnt(0)
	s_add_i32 s3, s3, -1
	s_cmp_lg_u32 s2, s3
	s_cselect_b64 s[2:3], -1, 0
	s_sub_i32 s6, s6, s8
	v_cmp_gt_u32_e32 vcc, s6, v0
	s_or_b64 s[2:3], vcc, s[2:3]
	s_and_saveexec_b64 s[6:7], s[2:3]
	s_cbranch_execz .LBB10_2
; %bb.1:
	s_load_dwordx2 s[0:1], s[0:1], 0x10
	s_mov_b32 s9, 0
	s_lshl_b64 s[2:3], s[8:9], 3
	v_lshlrev_b32_e32 v2, 3, v0
	s_waitcnt lgkmcnt(0)
	s_add_u32 s0, s0, s2
	s_addc_u32 s1, s1, s3
	s_add_u32 s2, s4, s2
	s_addc_u32 s3, s5, s3
	global_load_dwordx2 v[0:1], v2, s[2:3]
	s_waitcnt vmcnt(0)
	global_store_dwordx2 v2, v[0:1], s[0:1]
.LBB10_2:
	s_endpgm
	.section	.rodata,"a",@progbits
	.p2align	6, 0x0
	.amdhsa_kernel _ZN7rocprim17ROCPRIM_304000_NS6detail16transform_kernelINS1_24wrapped_transform_configINS0_14default_configElEElPlS6_NS0_8identityIlEEEEvT1_mT2_T3_
		.amdhsa_group_segment_fixed_size 0
		.amdhsa_private_segment_fixed_size 0
		.amdhsa_kernarg_size 288
		.amdhsa_user_sgpr_count 2
		.amdhsa_user_sgpr_dispatch_ptr 0
		.amdhsa_user_sgpr_queue_ptr 0
		.amdhsa_user_sgpr_kernarg_segment_ptr 1
		.amdhsa_user_sgpr_dispatch_id 0
		.amdhsa_user_sgpr_kernarg_preload_length 0
		.amdhsa_user_sgpr_kernarg_preload_offset 0
		.amdhsa_user_sgpr_private_segment_size 0
		.amdhsa_uses_dynamic_stack 0
		.amdhsa_enable_private_segment 0
		.amdhsa_system_sgpr_workgroup_id_x 1
		.amdhsa_system_sgpr_workgroup_id_y 0
		.amdhsa_system_sgpr_workgroup_id_z 0
		.amdhsa_system_sgpr_workgroup_info 0
		.amdhsa_system_vgpr_workitem_id 0
		.amdhsa_next_free_vgpr 3
		.amdhsa_next_free_sgpr 10
		.amdhsa_accum_offset 4
		.amdhsa_reserve_vcc 1
		.amdhsa_float_round_mode_32 0
		.amdhsa_float_round_mode_16_64 0
		.amdhsa_float_denorm_mode_32 3
		.amdhsa_float_denorm_mode_16_64 3
		.amdhsa_dx10_clamp 1
		.amdhsa_ieee_mode 1
		.amdhsa_fp16_overflow 0
		.amdhsa_tg_split 0
		.amdhsa_exception_fp_ieee_invalid_op 0
		.amdhsa_exception_fp_denorm_src 0
		.amdhsa_exception_fp_ieee_div_zero 0
		.amdhsa_exception_fp_ieee_overflow 0
		.amdhsa_exception_fp_ieee_underflow 0
		.amdhsa_exception_fp_ieee_inexact 0
		.amdhsa_exception_int_div_zero 0
	.end_amdhsa_kernel
	.section	.text._ZN7rocprim17ROCPRIM_304000_NS6detail16transform_kernelINS1_24wrapped_transform_configINS0_14default_configElEElPlS6_NS0_8identityIlEEEEvT1_mT2_T3_,"axG",@progbits,_ZN7rocprim17ROCPRIM_304000_NS6detail16transform_kernelINS1_24wrapped_transform_configINS0_14default_configElEElPlS6_NS0_8identityIlEEEEvT1_mT2_T3_,comdat
.Lfunc_end10:
	.size	_ZN7rocprim17ROCPRIM_304000_NS6detail16transform_kernelINS1_24wrapped_transform_configINS0_14default_configElEElPlS6_NS0_8identityIlEEEEvT1_mT2_T3_, .Lfunc_end10-_ZN7rocprim17ROCPRIM_304000_NS6detail16transform_kernelINS1_24wrapped_transform_configINS0_14default_configElEElPlS6_NS0_8identityIlEEEEvT1_mT2_T3_
                                        ; -- End function
	.set _ZN7rocprim17ROCPRIM_304000_NS6detail16transform_kernelINS1_24wrapped_transform_configINS0_14default_configElEElPlS6_NS0_8identityIlEEEEvT1_mT2_T3_.num_vgpr, 3
	.set _ZN7rocprim17ROCPRIM_304000_NS6detail16transform_kernelINS1_24wrapped_transform_configINS0_14default_configElEElPlS6_NS0_8identityIlEEEEvT1_mT2_T3_.num_agpr, 0
	.set _ZN7rocprim17ROCPRIM_304000_NS6detail16transform_kernelINS1_24wrapped_transform_configINS0_14default_configElEElPlS6_NS0_8identityIlEEEEvT1_mT2_T3_.numbered_sgpr, 10
	.set _ZN7rocprim17ROCPRIM_304000_NS6detail16transform_kernelINS1_24wrapped_transform_configINS0_14default_configElEElPlS6_NS0_8identityIlEEEEvT1_mT2_T3_.num_named_barrier, 0
	.set _ZN7rocprim17ROCPRIM_304000_NS6detail16transform_kernelINS1_24wrapped_transform_configINS0_14default_configElEElPlS6_NS0_8identityIlEEEEvT1_mT2_T3_.private_seg_size, 0
	.set _ZN7rocprim17ROCPRIM_304000_NS6detail16transform_kernelINS1_24wrapped_transform_configINS0_14default_configElEElPlS6_NS0_8identityIlEEEEvT1_mT2_T3_.uses_vcc, 1
	.set _ZN7rocprim17ROCPRIM_304000_NS6detail16transform_kernelINS1_24wrapped_transform_configINS0_14default_configElEElPlS6_NS0_8identityIlEEEEvT1_mT2_T3_.uses_flat_scratch, 0
	.set _ZN7rocprim17ROCPRIM_304000_NS6detail16transform_kernelINS1_24wrapped_transform_configINS0_14default_configElEElPlS6_NS0_8identityIlEEEEvT1_mT2_T3_.has_dyn_sized_stack, 0
	.set _ZN7rocprim17ROCPRIM_304000_NS6detail16transform_kernelINS1_24wrapped_transform_configINS0_14default_configElEElPlS6_NS0_8identityIlEEEEvT1_mT2_T3_.has_recursion, 0
	.set _ZN7rocprim17ROCPRIM_304000_NS6detail16transform_kernelINS1_24wrapped_transform_configINS0_14default_configElEElPlS6_NS0_8identityIlEEEEvT1_mT2_T3_.has_indirect_call, 0
	.section	.AMDGPU.csdata,"",@progbits
; Kernel info:
; codeLenInByte = 120
; TotalNumSgprs: 16
; NumVgprs: 3
; NumAgprs: 0
; TotalNumVgprs: 3
; ScratchSize: 0
; MemoryBound: 0
; FloatMode: 240
; IeeeMode: 1
; LDSByteSize: 0 bytes/workgroup (compile time only)
; SGPRBlocks: 1
; VGPRBlocks: 0
; NumSGPRsForWavesPerEU: 16
; NumVGPRsForWavesPerEU: 3
; AccumOffset: 4
; Occupancy: 8
; WaveLimiterHint : 0
; COMPUTE_PGM_RSRC2:SCRATCH_EN: 0
; COMPUTE_PGM_RSRC2:USER_SGPR: 2
; COMPUTE_PGM_RSRC2:TRAP_HANDLER: 0
; COMPUTE_PGM_RSRC2:TGID_X_EN: 1
; COMPUTE_PGM_RSRC2:TGID_Y_EN: 0
; COMPUTE_PGM_RSRC2:TGID_Z_EN: 0
; COMPUTE_PGM_RSRC2:TIDIG_COMP_CNT: 0
; COMPUTE_PGM_RSRC3_GFX90A:ACCUM_OFFSET: 0
; COMPUTE_PGM_RSRC3_GFX90A:TG_SPLIT: 0
	.section	.text._ZN7rocprim17ROCPRIM_304000_NS6detail18single_scan_kernelILb0ENS1_19wrapped_scan_configINS0_14default_configElEEPKlPlSt4plusIvEllEEvT1_mT4_T2_T3_,"axG",@progbits,_ZN7rocprim17ROCPRIM_304000_NS6detail18single_scan_kernelILb0ENS1_19wrapped_scan_configINS0_14default_configElEEPKlPlSt4plusIvEllEEvT1_mT4_T2_T3_,comdat
	.protected	_ZN7rocprim17ROCPRIM_304000_NS6detail18single_scan_kernelILb0ENS1_19wrapped_scan_configINS0_14default_configElEEPKlPlSt4plusIvEllEEvT1_mT4_T2_T3_ ; -- Begin function _ZN7rocprim17ROCPRIM_304000_NS6detail18single_scan_kernelILb0ENS1_19wrapped_scan_configINS0_14default_configElEEPKlPlSt4plusIvEllEEvT1_mT4_T2_T3_
	.globl	_ZN7rocprim17ROCPRIM_304000_NS6detail18single_scan_kernelILb0ENS1_19wrapped_scan_configINS0_14default_configElEEPKlPlSt4plusIvEllEEvT1_mT4_T2_T3_
	.p2align	8
	.type	_ZN7rocprim17ROCPRIM_304000_NS6detail18single_scan_kernelILb0ENS1_19wrapped_scan_configINS0_14default_configElEEPKlPlSt4plusIvEllEEvT1_mT4_T2_T3_,@function
_ZN7rocprim17ROCPRIM_304000_NS6detail18single_scan_kernelILb0ENS1_19wrapped_scan_configINS0_14default_configElEEPKlPlSt4plusIvEllEEvT1_mT4_T2_T3_: ; @_ZN7rocprim17ROCPRIM_304000_NS6detail18single_scan_kernelILb0ENS1_19wrapped_scan_configINS0_14default_configElEEPKlPlSt4plusIvEllEEvT1_mT4_T2_T3_
; %bb.0:
	s_load_dwordx4 s[16:19], s[0:1], 0x0
	v_mov_b32_e32 v19, 0
	v_lshlrev_b32_e32 v18, 3, v0
	s_waitcnt lgkmcnt(0)
	s_load_dwordx2 s[4:5], s[16:17], 0x0
	v_lshl_add_u64 v[20:21], s[16:17], 0, v[18:19]
	v_cmp_gt_u32_e64 s[2:3], s18, v0
	s_waitcnt lgkmcnt(0)
	s_mov_b32 s6, s4
	s_mov_b32 s7, s5
	;; [unrolled: 1-line block ×10, first 2 shown]
	v_mov_b64_e32 v[2:3], s[4:5]
	v_mov_b64_e32 v[4:5], s[6:7]
	;; [unrolled: 1-line block ×8, first 2 shown]
	s_and_saveexec_b64 s[6:7], s[2:3]
	s_cbranch_execz .LBB11_2
; %bb.1:
	global_load_dwordx2 v[2:3], v[20:21], off
	v_mov_b32_e32 v4, s4
	v_mov_b32_e32 v5, s5
	;; [unrolled: 1-line block ×10, first 2 shown]
.LBB11_2:
	s_or_b64 exec, exec, s[6:7]
	v_or_b32_e32 v1, 0x100, v0
	v_cmp_gt_u32_e64 s[4:5], s18, v1
	s_and_saveexec_b64 s[6:7], s[4:5]
	s_cbranch_execz .LBB11_4
; %bb.3:
	global_load_dwordx2 v[4:5], v[20:21], off offset:2048
.LBB11_4:
	s_or_b64 exec, exec, s[6:7]
	v_or_b32_e32 v1, 0x200, v0
	v_cmp_gt_u32_e64 s[6:7], s18, v1
	s_and_saveexec_b64 s[8:9], s[6:7]
	s_cbranch_execz .LBB11_6
; %bb.5:
	v_add_co_u32_e32 v6, vcc, 0x1000, v20
	s_nop 1
	v_addc_co_u32_e32 v7, vcc, 0, v21, vcc
	global_load_dwordx2 v[6:7], v[6:7], off
.LBB11_6:
	s_or_b64 exec, exec, s[8:9]
	v_or_b32_e32 v1, 0x300, v0
	v_cmp_gt_u32_e64 s[8:9], s18, v1
	s_and_saveexec_b64 s[10:11], s[8:9]
	s_cbranch_execz .LBB11_8
; %bb.7:
	v_add_co_u32_e32 v8, vcc, 0x1000, v20
	s_nop 1
	v_addc_co_u32_e32 v9, vcc, 0, v21, vcc
	global_load_dwordx2 v[8:9], v[8:9], off offset:2048
.LBB11_8:
	s_or_b64 exec, exec, s[10:11]
	v_or_b32_e32 v1, 0x400, v0
	v_cmp_gt_u32_e64 s[10:11], s18, v1
	s_and_saveexec_b64 s[12:13], s[10:11]
	s_cbranch_execz .LBB11_10
; %bb.9:
	v_add_co_u32_e32 v10, vcc, 0x2000, v20
	s_nop 1
	v_addc_co_u32_e32 v11, vcc, 0, v21, vcc
	global_load_dwordx2 v[10:11], v[10:11], off
.LBB11_10:
	s_or_b64 exec, exec, s[12:13]
	v_or_b32_e32 v1, 0x500, v0
	v_cmp_gt_u32_e64 s[12:13], s18, v1
	s_and_saveexec_b64 s[14:15], s[12:13]
	s_cbranch_execz .LBB11_12
; %bb.11:
	v_add_co_u32_e32 v12, vcc, 0x2000, v20
	s_nop 1
	v_addc_co_u32_e32 v13, vcc, 0, v21, vcc
	global_load_dwordx2 v[12:13], v[12:13], off offset:2048
.LBB11_12:
	s_or_b64 exec, exec, s[14:15]
	v_mad_u32_u24 v1, v0, 40, v18
	s_waitcnt vmcnt(0)
	ds_write2st64_b64 v18, v[2:3], v[4:5] offset1:4
	ds_write2st64_b64 v18, v[6:7], v[8:9] offset0:8 offset1:12
	ds_write2st64_b64 v18, v[10:11], v[12:13] offset0:16 offset1:20
	s_waitcnt lgkmcnt(0)
	s_barrier
	ds_read_b128 v[10:13], v1
	ds_read_b128 v[6:9], v1 offset:16
	ds_read_b128 v[2:5], v1 offset:32
	v_mbcnt_lo_u32_b32 v1, -1, 0
	v_mov_b32_e32 v20, 0
	s_waitcnt lgkmcnt(2)
	v_lshl_add_u64 v[14:15], v[12:13], 0, v[10:11]
	s_waitcnt lgkmcnt(1)
	v_lshl_add_u64 v[14:15], v[14:15], 0, v[6:7]
	v_lshl_add_u64 v[14:15], v[14:15], 0, v[8:9]
	s_waitcnt lgkmcnt(0)
	v_lshl_add_u64 v[14:15], v[14:15], 0, v[2:3]
	v_lshl_add_u64 v[14:15], v[14:15], 0, v[4:5]
	v_mbcnt_hi_u32_b32 v1, -1, v1
	v_mov_b32_e32 v17, v20
	v_mov_b32_dpp v16, v14 row_shr:1 row_mask:0xf bank_mask:0xf
	v_and_b32_e32 v19, 15, v1
	v_mov_b32_dpp v21, v15 row_shr:1 row_mask:0xf bank_mask:0xf
	v_lshl_add_u64 v[16:17], v[14:15], 0, v[16:17]
	v_lshl_add_u64 v[20:21], v[20:21], 0, v[16:17]
	v_cmp_eq_u32_e32 vcc, 0, v19
	v_cmp_ne_u32_e64 s[16:17], 0, v1
	s_nop 0
	v_cndmask_b32_e32 v22, v16, v14, vcc
	v_cndmask_b32_e32 v17, v21, v15, vcc
	;; [unrolled: 1-line block ×3, first 2 shown]
	v_mov_b32_dpp v20, v22 row_shr:2 row_mask:0xf bank_mask:0xf
	v_mov_b32_dpp v21, v17 row_shr:2 row_mask:0xf bank_mask:0xf
	v_lshl_add_u64 v[20:21], v[20:21], 0, v[16:17]
	v_cmp_lt_u32_e32 vcc, 1, v19
	s_barrier
	s_nop 0
	v_cndmask_b32_e32 v22, v22, v20, vcc
	v_cndmask_b32_e32 v17, v17, v21, vcc
	;; [unrolled: 1-line block ×3, first 2 shown]
	v_mov_b32_dpp v20, v22 row_shr:4 row_mask:0xf bank_mask:0xf
	v_mov_b32_dpp v21, v17 row_shr:4 row_mask:0xf bank_mask:0xf
	v_lshl_add_u64 v[20:21], v[20:21], 0, v[16:17]
	v_cmp_lt_u32_e32 vcc, 3, v19
	s_nop 1
	v_cndmask_b32_e32 v22, v22, v20, vcc
	v_cndmask_b32_e32 v17, v17, v21, vcc
	;; [unrolled: 1-line block ×3, first 2 shown]
	v_mov_b32_dpp v20, v22 row_shr:8 row_mask:0xf bank_mask:0xf
	v_mov_b32_dpp v21, v17 row_shr:8 row_mask:0xf bank_mask:0xf
	v_lshl_add_u64 v[20:21], v[20:21], 0, v[16:17]
	v_cmp_lt_u32_e32 vcc, 7, v19
	s_nop 1
	v_cndmask_b32_e32 v19, v22, v20, vcc
	v_cndmask_b32_e32 v17, v17, v21, vcc
	;; [unrolled: 1-line block ×3, first 2 shown]
	v_mov_b32_dpp v20, v19 row_bcast:15 row_mask:0xf bank_mask:0xf
	v_mov_b32_dpp v21, v17 row_bcast:15 row_mask:0xf bank_mask:0xf
	v_and_b32_e32 v22, 16, v1
	v_lshl_add_u64 v[20:21], v[20:21], 0, v[16:17]
	v_cmp_eq_u32_e64 s[14:15], 0, v22
	v_cmp_eq_u32_e32 vcc, 0, v1
	s_nop 0
	v_cndmask_b32_e64 v22, v21, v17, s[14:15]
	v_cndmask_b32_e64 v19, v20, v19, s[14:15]
	s_nop 0
	v_mov_b32_dpp v22, v22 row_bcast:31 row_mask:0xf bank_mask:0xf
	v_mov_b32_dpp v19, v19 row_bcast:31 row_mask:0xf bank_mask:0xf
	s_and_saveexec_b64 s[18:19], s[16:17]
; %bb.13:
	v_cndmask_b32_e64 v15, v21, v17, s[14:15]
	v_cndmask_b32_e64 v14, v20, v16, s[14:15]
	v_cmp_lt_u32_e64 s[14:15], 31, v1
	s_nop 1
	v_cndmask_b32_e64 v17, 0, v22, s[14:15]
	v_cndmask_b32_e64 v16, 0, v19, s[14:15]
	v_lshl_add_u64 v[14:15], v[16:17], 0, v[14:15]
; %bb.14:
	s_or_b64 exec, exec, s[18:19]
	v_or_b32_e32 v16, 63, v0
	v_lshrrev_b32_e32 v19, 6, v0
	v_cmp_eq_u32_e64 s[14:15], v0, v16
	s_and_saveexec_b64 s[16:17], s[14:15]
; %bb.15:
	v_lshlrev_b32_e32 v16, 3, v19
	ds_write_b64 v16, v[14:15]
; %bb.16:
	s_or_b64 exec, exec, s[16:17]
	v_cmp_gt_u32_e64 s[14:15], 4, v0
	s_waitcnt lgkmcnt(0)
	s_barrier
	s_and_saveexec_b64 s[16:17], s[14:15]
	s_cbranch_execz .LBB11_18
; %bb.17:
	ds_read_b64 v[16:17], v18
	v_mov_b32_e32 v20, 0
	v_mov_b32_e32 v23, v20
	v_and_b32_e32 v24, 3, v1
	v_cmp_eq_u32_e64 s[14:15], 0, v24
	s_waitcnt lgkmcnt(0)
	v_mov_b32_dpp v22, v16 row_shr:1 row_mask:0xf bank_mask:0xf
	v_mov_b32_dpp v21, v17 row_shr:1 row_mask:0xf bank_mask:0xf
	v_lshl_add_u64 v[22:23], v[16:17], 0, v[22:23]
	v_lshl_add_u64 v[20:21], v[20:21], 0, v[22:23]
	v_cndmask_b32_e64 v21, v21, v17, s[14:15]
	v_cndmask_b32_e64 v20, v20, v16, s[14:15]
	v_cndmask_b32_e64 v16, v22, v16, s[14:15]
	v_mov_b32_dpp v17, v21 row_shr:2 row_mask:0xf bank_mask:0xf
	v_cmp_lt_u32_e64 s[14:15], 1, v24
	v_mov_b32_dpp v16, v16 row_shr:2 row_mask:0xf bank_mask:0xf
	s_nop 0
	v_cndmask_b32_e64 v16, 0, v16, s[14:15]
	v_cndmask_b32_e64 v17, 0, v17, s[14:15]
	v_lshl_add_u64 v[16:17], v[16:17], 0, v[20:21]
	ds_write_b64 v18, v[16:17]
.LBB11_18:
	s_or_b64 exec, exec, s[16:17]
	v_mul_u32_u24_e32 v20, 40, v0
	v_cmp_lt_u32_e64 s[14:15], 63, v0
	s_waitcnt lgkmcnt(0)
	s_barrier
                                        ; implicit-def: $vgpr16_vgpr17
	s_and_saveexec_b64 s[16:17], s[14:15]
	s_cbranch_execz .LBB11_20
; %bb.19:
	v_lshl_add_u32 v16, v19, 3, -8
	ds_read_b64 v[16:17], v16
	s_waitcnt lgkmcnt(0)
	v_lshl_add_u64 v[14:15], v[16:17], 0, v[14:15]
.LBB11_20:
	s_or_b64 exec, exec, s[16:17]
	v_add_u32_e32 v19, -1, v1
	v_and_b32_e32 v21, 64, v1
	v_cmp_lt_i32_e64 s[14:15], v19, v21
	s_load_dwordx2 s[0:1], s[0:1], 0x18
	s_waitcnt lgkmcnt(0)
	v_cndmask_b32_e64 v1, v19, v1, s[14:15]
	v_lshlrev_b32_e32 v1, 2, v1
	ds_bpermute_b32 v14, v1, v14
	ds_bpermute_b32 v1, v1, v15
	s_barrier
	s_waitcnt lgkmcnt(0)
	v_cndmask_b32_e32 v14, v14, v16, vcc
	v_cndmask_b32_e32 v1, v1, v17, vcc
	v_cmp_ne_u32_e32 vcc, 0, v0
	v_lshlrev_b32_e32 v0, 3, v0
	s_nop 0
	v_cndmask_b32_e32 v15, 0, v1, vcc
	v_cndmask_b32_e32 v14, 0, v14, vcc
	v_lshl_add_u64 v[10:11], v[14:15], 0, v[10:11]
	v_lshl_add_u64 v[12:13], v[10:11], 0, v[12:13]
	;; [unrolled: 1-line block ×6, first 2 shown]
	v_add_u32_e32 v1, v18, v20
	ds_write_b128 v1, v[10:13]
	ds_write_b128 v1, v[6:9] offset:16
	ds_write_b128 v1, v[2:5] offset:32
	s_waitcnt lgkmcnt(0)
	s_barrier
	ds_read2st64_b64 v[6:9], v18 offset0:4 offset1:8
	ds_read2st64_b64 v[2:5], v18 offset0:12 offset1:16
	ds_read_b64 v[10:11], v18 offset:10240
	v_mov_b32_e32 v1, 0
	v_lshl_add_u64 v[0:1], s[0:1], 0, v[0:1]
	s_and_saveexec_b64 s[0:1], s[2:3]
	s_cbranch_execnz .LBB11_27
; %bb.21:
	s_or_b64 exec, exec, s[0:1]
	s_and_saveexec_b64 s[0:1], s[4:5]
	s_cbranch_execnz .LBB11_28
.LBB11_22:
	s_or_b64 exec, exec, s[0:1]
	s_and_saveexec_b64 s[0:1], s[6:7]
	s_cbranch_execnz .LBB11_29
.LBB11_23:
	s_or_b64 exec, exec, s[0:1]
	s_and_saveexec_b64 s[0:1], s[8:9]
	s_cbranch_execnz .LBB11_30
.LBB11_24:
	s_or_b64 exec, exec, s[0:1]
	s_and_saveexec_b64 s[0:1], s[10:11]
	s_cbranch_execnz .LBB11_31
.LBB11_25:
	s_or_b64 exec, exec, s[0:1]
	s_and_saveexec_b64 s[0:1], s[12:13]
	s_cbranch_execnz .LBB11_32
.LBB11_26:
	s_endpgm
.LBB11_27:
	ds_read_b64 v[12:13], v18
	s_waitcnt lgkmcnt(0)
	global_store_dwordx2 v[0:1], v[12:13], off
	s_or_b64 exec, exec, s[0:1]
	s_and_saveexec_b64 s[0:1], s[4:5]
	s_cbranch_execz .LBB11_22
.LBB11_28:
	s_waitcnt lgkmcnt(2)
	global_store_dwordx2 v[0:1], v[6:7], off offset:2048
	s_or_b64 exec, exec, s[0:1]
	s_and_saveexec_b64 s[0:1], s[6:7]
	s_cbranch_execz .LBB11_23
.LBB11_29:
	s_waitcnt lgkmcnt(2)
	v_add_co_u32_e32 v6, vcc, 0x1000, v0
	s_nop 1
	v_addc_co_u32_e32 v7, vcc, 0, v1, vcc
	global_store_dwordx2 v[6:7], v[8:9], off
	s_or_b64 exec, exec, s[0:1]
	s_and_saveexec_b64 s[0:1], s[8:9]
	s_cbranch_execz .LBB11_24
.LBB11_30:
	s_waitcnt lgkmcnt(2)
	v_add_co_u32_e32 v6, vcc, 0x1000, v0
	s_nop 1
	v_addc_co_u32_e32 v7, vcc, 0, v1, vcc
	s_waitcnt lgkmcnt(1)
	global_store_dwordx2 v[6:7], v[2:3], off offset:2048
	s_or_b64 exec, exec, s[0:1]
	s_and_saveexec_b64 s[0:1], s[10:11]
	s_cbranch_execz .LBB11_25
.LBB11_31:
	s_waitcnt lgkmcnt(1)
	v_add_co_u32_e32 v2, vcc, 0x2000, v0
	s_nop 1
	v_addc_co_u32_e32 v3, vcc, 0, v1, vcc
	global_store_dwordx2 v[2:3], v[4:5], off
	s_or_b64 exec, exec, s[0:1]
	s_and_saveexec_b64 s[0:1], s[12:13]
	s_cbranch_execz .LBB11_26
.LBB11_32:
	v_add_co_u32_e32 v0, vcc, 0x2000, v0
	s_nop 1
	v_addc_co_u32_e32 v1, vcc, 0, v1, vcc
	s_waitcnt lgkmcnt(0)
	global_store_dwordx2 v[0:1], v[10:11], off offset:2048
	s_endpgm
	.section	.rodata,"a",@progbits
	.p2align	6, 0x0
	.amdhsa_kernel _ZN7rocprim17ROCPRIM_304000_NS6detail18single_scan_kernelILb0ENS1_19wrapped_scan_configINS0_14default_configElEEPKlPlSt4plusIvEllEEvT1_mT4_T2_T3_
		.amdhsa_group_segment_fixed_size 12288
		.amdhsa_private_segment_fixed_size 0
		.amdhsa_kernarg_size 36
		.amdhsa_user_sgpr_count 2
		.amdhsa_user_sgpr_dispatch_ptr 0
		.amdhsa_user_sgpr_queue_ptr 0
		.amdhsa_user_sgpr_kernarg_segment_ptr 1
		.amdhsa_user_sgpr_dispatch_id 0
		.amdhsa_user_sgpr_kernarg_preload_length 0
		.amdhsa_user_sgpr_kernarg_preload_offset 0
		.amdhsa_user_sgpr_private_segment_size 0
		.amdhsa_uses_dynamic_stack 0
		.amdhsa_enable_private_segment 0
		.amdhsa_system_sgpr_workgroup_id_x 1
		.amdhsa_system_sgpr_workgroup_id_y 0
		.amdhsa_system_sgpr_workgroup_id_z 0
		.amdhsa_system_sgpr_workgroup_info 0
		.amdhsa_system_vgpr_workitem_id 0
		.amdhsa_next_free_vgpr 25
		.amdhsa_next_free_sgpr 20
		.amdhsa_accum_offset 28
		.amdhsa_reserve_vcc 1
		.amdhsa_float_round_mode_32 0
		.amdhsa_float_round_mode_16_64 0
		.amdhsa_float_denorm_mode_32 3
		.amdhsa_float_denorm_mode_16_64 3
		.amdhsa_dx10_clamp 1
		.amdhsa_ieee_mode 1
		.amdhsa_fp16_overflow 0
		.amdhsa_tg_split 0
		.amdhsa_exception_fp_ieee_invalid_op 0
		.amdhsa_exception_fp_denorm_src 0
		.amdhsa_exception_fp_ieee_div_zero 0
		.amdhsa_exception_fp_ieee_overflow 0
		.amdhsa_exception_fp_ieee_underflow 0
		.amdhsa_exception_fp_ieee_inexact 0
		.amdhsa_exception_int_div_zero 0
	.end_amdhsa_kernel
	.section	.text._ZN7rocprim17ROCPRIM_304000_NS6detail18single_scan_kernelILb0ENS1_19wrapped_scan_configINS0_14default_configElEEPKlPlSt4plusIvEllEEvT1_mT4_T2_T3_,"axG",@progbits,_ZN7rocprim17ROCPRIM_304000_NS6detail18single_scan_kernelILb0ENS1_19wrapped_scan_configINS0_14default_configElEEPKlPlSt4plusIvEllEEvT1_mT4_T2_T3_,comdat
.Lfunc_end11:
	.size	_ZN7rocprim17ROCPRIM_304000_NS6detail18single_scan_kernelILb0ENS1_19wrapped_scan_configINS0_14default_configElEEPKlPlSt4plusIvEllEEvT1_mT4_T2_T3_, .Lfunc_end11-_ZN7rocprim17ROCPRIM_304000_NS6detail18single_scan_kernelILb0ENS1_19wrapped_scan_configINS0_14default_configElEEPKlPlSt4plusIvEllEEvT1_mT4_T2_T3_
                                        ; -- End function
	.set _ZN7rocprim17ROCPRIM_304000_NS6detail18single_scan_kernelILb0ENS1_19wrapped_scan_configINS0_14default_configElEEPKlPlSt4plusIvEllEEvT1_mT4_T2_T3_.num_vgpr, 25
	.set _ZN7rocprim17ROCPRIM_304000_NS6detail18single_scan_kernelILb0ENS1_19wrapped_scan_configINS0_14default_configElEEPKlPlSt4plusIvEllEEvT1_mT4_T2_T3_.num_agpr, 0
	.set _ZN7rocprim17ROCPRIM_304000_NS6detail18single_scan_kernelILb0ENS1_19wrapped_scan_configINS0_14default_configElEEPKlPlSt4plusIvEllEEvT1_mT4_T2_T3_.numbered_sgpr, 20
	.set _ZN7rocprim17ROCPRIM_304000_NS6detail18single_scan_kernelILb0ENS1_19wrapped_scan_configINS0_14default_configElEEPKlPlSt4plusIvEllEEvT1_mT4_T2_T3_.num_named_barrier, 0
	.set _ZN7rocprim17ROCPRIM_304000_NS6detail18single_scan_kernelILb0ENS1_19wrapped_scan_configINS0_14default_configElEEPKlPlSt4plusIvEllEEvT1_mT4_T2_T3_.private_seg_size, 0
	.set _ZN7rocprim17ROCPRIM_304000_NS6detail18single_scan_kernelILb0ENS1_19wrapped_scan_configINS0_14default_configElEEPKlPlSt4plusIvEllEEvT1_mT4_T2_T3_.uses_vcc, 1
	.set _ZN7rocprim17ROCPRIM_304000_NS6detail18single_scan_kernelILb0ENS1_19wrapped_scan_configINS0_14default_configElEEPKlPlSt4plusIvEllEEvT1_mT4_T2_T3_.uses_flat_scratch, 0
	.set _ZN7rocprim17ROCPRIM_304000_NS6detail18single_scan_kernelILb0ENS1_19wrapped_scan_configINS0_14default_configElEEPKlPlSt4plusIvEllEEvT1_mT4_T2_T3_.has_dyn_sized_stack, 0
	.set _ZN7rocprim17ROCPRIM_304000_NS6detail18single_scan_kernelILb0ENS1_19wrapped_scan_configINS0_14default_configElEEPKlPlSt4plusIvEllEEvT1_mT4_T2_T3_.has_recursion, 0
	.set _ZN7rocprim17ROCPRIM_304000_NS6detail18single_scan_kernelILb0ENS1_19wrapped_scan_configINS0_14default_configElEEPKlPlSt4plusIvEllEEvT1_mT4_T2_T3_.has_indirect_call, 0
	.section	.AMDGPU.csdata,"",@progbits
; Kernel info:
; codeLenInByte = 1676
; TotalNumSgprs: 26
; NumVgprs: 25
; NumAgprs: 0
; TotalNumVgprs: 25
; ScratchSize: 0
; MemoryBound: 1
; FloatMode: 240
; IeeeMode: 1
; LDSByteSize: 12288 bytes/workgroup (compile time only)
; SGPRBlocks: 3
; VGPRBlocks: 3
; NumSGPRsForWavesPerEU: 26
; NumVGPRsForWavesPerEU: 25
; AccumOffset: 28
; Occupancy: 8
; WaveLimiterHint : 0
; COMPUTE_PGM_RSRC2:SCRATCH_EN: 0
; COMPUTE_PGM_RSRC2:USER_SGPR: 2
; COMPUTE_PGM_RSRC2:TRAP_HANDLER: 0
; COMPUTE_PGM_RSRC2:TGID_X_EN: 1
; COMPUTE_PGM_RSRC2:TGID_Y_EN: 0
; COMPUTE_PGM_RSRC2:TGID_Z_EN: 0
; COMPUTE_PGM_RSRC2:TIDIG_COMP_CNT: 0
; COMPUTE_PGM_RSRC3_GFX90A:ACCUM_OFFSET: 6
; COMPUTE_PGM_RSRC3_GFX90A:TG_SPLIT: 0
	.section	.text._ZN7rocprim17ROCPRIM_304000_NS6detail20lookback_scan_kernelILNS1_25lookback_scan_determinismE0ELb0ENS1_19wrapped_scan_configINS0_14default_configEiEEPKiPlSt4plusIvEiiNS1_19lookback_scan_stateIiLb1ELb1EEEEEvT2_T3_mT5_T4_T7_jPT6_SK_bb,"axG",@progbits,_ZN7rocprim17ROCPRIM_304000_NS6detail20lookback_scan_kernelILNS1_25lookback_scan_determinismE0ELb0ENS1_19wrapped_scan_configINS0_14default_configEiEEPKiPlSt4plusIvEiiNS1_19lookback_scan_stateIiLb1ELb1EEEEEvT2_T3_mT5_T4_T7_jPT6_SK_bb,comdat
	.protected	_ZN7rocprim17ROCPRIM_304000_NS6detail20lookback_scan_kernelILNS1_25lookback_scan_determinismE0ELb0ENS1_19wrapped_scan_configINS0_14default_configEiEEPKiPlSt4plusIvEiiNS1_19lookback_scan_stateIiLb1ELb1EEEEEvT2_T3_mT5_T4_T7_jPT6_SK_bb ; -- Begin function _ZN7rocprim17ROCPRIM_304000_NS6detail20lookback_scan_kernelILNS1_25lookback_scan_determinismE0ELb0ENS1_19wrapped_scan_configINS0_14default_configEiEEPKiPlSt4plusIvEiiNS1_19lookback_scan_stateIiLb1ELb1EEEEEvT2_T3_mT5_T4_T7_jPT6_SK_bb
	.globl	_ZN7rocprim17ROCPRIM_304000_NS6detail20lookback_scan_kernelILNS1_25lookback_scan_determinismE0ELb0ENS1_19wrapped_scan_configINS0_14default_configEiEEPKiPlSt4plusIvEiiNS1_19lookback_scan_stateIiLb1ELb1EEEEEvT2_T3_mT5_T4_T7_jPT6_SK_bb
	.p2align	8
	.type	_ZN7rocprim17ROCPRIM_304000_NS6detail20lookback_scan_kernelILNS1_25lookback_scan_determinismE0ELb0ENS1_19wrapped_scan_configINS0_14default_configEiEEPKiPlSt4plusIvEiiNS1_19lookback_scan_stateIiLb1ELb1EEEEEvT2_T3_mT5_T4_T7_jPT6_SK_bb,@function
_ZN7rocprim17ROCPRIM_304000_NS6detail20lookback_scan_kernelILNS1_25lookback_scan_determinismE0ELb0ENS1_19wrapped_scan_configINS0_14default_configEiEEPKiPlSt4plusIvEiiNS1_19lookback_scan_stateIiLb1ELb1EEEEEvT2_T3_mT5_T4_T7_jPT6_SK_bb: ; @_ZN7rocprim17ROCPRIM_304000_NS6detail20lookback_scan_kernelILNS1_25lookback_scan_determinismE0ELb0ENS1_19wrapped_scan_configINS0_14default_configEiEEPKiPlSt4plusIvEiiNS1_19lookback_scan_stateIiLb1ELb1EEEEEvT2_T3_mT5_T4_T7_jPT6_SK_bb
; %bb.0:
	s_endpgm
	.section	.rodata,"a",@progbits
	.p2align	6, 0x0
	.amdhsa_kernel _ZN7rocprim17ROCPRIM_304000_NS6detail20lookback_scan_kernelILNS1_25lookback_scan_determinismE0ELb0ENS1_19wrapped_scan_configINS0_14default_configEiEEPKiPlSt4plusIvEiiNS1_19lookback_scan_stateIiLb1ELb1EEEEEvT2_T3_mT5_T4_T7_jPT6_SK_bb
		.amdhsa_group_segment_fixed_size 0
		.amdhsa_private_segment_fixed_size 0
		.amdhsa_kernarg_size 68
		.amdhsa_user_sgpr_count 2
		.amdhsa_user_sgpr_dispatch_ptr 0
		.amdhsa_user_sgpr_queue_ptr 0
		.amdhsa_user_sgpr_kernarg_segment_ptr 1
		.amdhsa_user_sgpr_dispatch_id 0
		.amdhsa_user_sgpr_kernarg_preload_length 0
		.amdhsa_user_sgpr_kernarg_preload_offset 0
		.amdhsa_user_sgpr_private_segment_size 0
		.amdhsa_uses_dynamic_stack 0
		.amdhsa_enable_private_segment 0
		.amdhsa_system_sgpr_workgroup_id_x 1
		.amdhsa_system_sgpr_workgroup_id_y 0
		.amdhsa_system_sgpr_workgroup_id_z 0
		.amdhsa_system_sgpr_workgroup_info 0
		.amdhsa_system_vgpr_workitem_id 0
		.amdhsa_next_free_vgpr 1
		.amdhsa_next_free_sgpr 0
		.amdhsa_accum_offset 4
		.amdhsa_reserve_vcc 0
		.amdhsa_float_round_mode_32 0
		.amdhsa_float_round_mode_16_64 0
		.amdhsa_float_denorm_mode_32 3
		.amdhsa_float_denorm_mode_16_64 3
		.amdhsa_dx10_clamp 1
		.amdhsa_ieee_mode 1
		.amdhsa_fp16_overflow 0
		.amdhsa_tg_split 0
		.amdhsa_exception_fp_ieee_invalid_op 0
		.amdhsa_exception_fp_denorm_src 0
		.amdhsa_exception_fp_ieee_div_zero 0
		.amdhsa_exception_fp_ieee_overflow 0
		.amdhsa_exception_fp_ieee_underflow 0
		.amdhsa_exception_fp_ieee_inexact 0
		.amdhsa_exception_int_div_zero 0
	.end_amdhsa_kernel
	.section	.text._ZN7rocprim17ROCPRIM_304000_NS6detail20lookback_scan_kernelILNS1_25lookback_scan_determinismE0ELb0ENS1_19wrapped_scan_configINS0_14default_configEiEEPKiPlSt4plusIvEiiNS1_19lookback_scan_stateIiLb1ELb1EEEEEvT2_T3_mT5_T4_T7_jPT6_SK_bb,"axG",@progbits,_ZN7rocprim17ROCPRIM_304000_NS6detail20lookback_scan_kernelILNS1_25lookback_scan_determinismE0ELb0ENS1_19wrapped_scan_configINS0_14default_configEiEEPKiPlSt4plusIvEiiNS1_19lookback_scan_stateIiLb1ELb1EEEEEvT2_T3_mT5_T4_T7_jPT6_SK_bb,comdat
.Lfunc_end12:
	.size	_ZN7rocprim17ROCPRIM_304000_NS6detail20lookback_scan_kernelILNS1_25lookback_scan_determinismE0ELb0ENS1_19wrapped_scan_configINS0_14default_configEiEEPKiPlSt4plusIvEiiNS1_19lookback_scan_stateIiLb1ELb1EEEEEvT2_T3_mT5_T4_T7_jPT6_SK_bb, .Lfunc_end12-_ZN7rocprim17ROCPRIM_304000_NS6detail20lookback_scan_kernelILNS1_25lookback_scan_determinismE0ELb0ENS1_19wrapped_scan_configINS0_14default_configEiEEPKiPlSt4plusIvEiiNS1_19lookback_scan_stateIiLb1ELb1EEEEEvT2_T3_mT5_T4_T7_jPT6_SK_bb
                                        ; -- End function
	.set _ZN7rocprim17ROCPRIM_304000_NS6detail20lookback_scan_kernelILNS1_25lookback_scan_determinismE0ELb0ENS1_19wrapped_scan_configINS0_14default_configEiEEPKiPlSt4plusIvEiiNS1_19lookback_scan_stateIiLb1ELb1EEEEEvT2_T3_mT5_T4_T7_jPT6_SK_bb.num_vgpr, 0
	.set _ZN7rocprim17ROCPRIM_304000_NS6detail20lookback_scan_kernelILNS1_25lookback_scan_determinismE0ELb0ENS1_19wrapped_scan_configINS0_14default_configEiEEPKiPlSt4plusIvEiiNS1_19lookback_scan_stateIiLb1ELb1EEEEEvT2_T3_mT5_T4_T7_jPT6_SK_bb.num_agpr, 0
	.set _ZN7rocprim17ROCPRIM_304000_NS6detail20lookback_scan_kernelILNS1_25lookback_scan_determinismE0ELb0ENS1_19wrapped_scan_configINS0_14default_configEiEEPKiPlSt4plusIvEiiNS1_19lookback_scan_stateIiLb1ELb1EEEEEvT2_T3_mT5_T4_T7_jPT6_SK_bb.numbered_sgpr, 0
	.set _ZN7rocprim17ROCPRIM_304000_NS6detail20lookback_scan_kernelILNS1_25lookback_scan_determinismE0ELb0ENS1_19wrapped_scan_configINS0_14default_configEiEEPKiPlSt4plusIvEiiNS1_19lookback_scan_stateIiLb1ELb1EEEEEvT2_T3_mT5_T4_T7_jPT6_SK_bb.num_named_barrier, 0
	.set _ZN7rocprim17ROCPRIM_304000_NS6detail20lookback_scan_kernelILNS1_25lookback_scan_determinismE0ELb0ENS1_19wrapped_scan_configINS0_14default_configEiEEPKiPlSt4plusIvEiiNS1_19lookback_scan_stateIiLb1ELb1EEEEEvT2_T3_mT5_T4_T7_jPT6_SK_bb.private_seg_size, 0
	.set _ZN7rocprim17ROCPRIM_304000_NS6detail20lookback_scan_kernelILNS1_25lookback_scan_determinismE0ELb0ENS1_19wrapped_scan_configINS0_14default_configEiEEPKiPlSt4plusIvEiiNS1_19lookback_scan_stateIiLb1ELb1EEEEEvT2_T3_mT5_T4_T7_jPT6_SK_bb.uses_vcc, 0
	.set _ZN7rocprim17ROCPRIM_304000_NS6detail20lookback_scan_kernelILNS1_25lookback_scan_determinismE0ELb0ENS1_19wrapped_scan_configINS0_14default_configEiEEPKiPlSt4plusIvEiiNS1_19lookback_scan_stateIiLb1ELb1EEEEEvT2_T3_mT5_T4_T7_jPT6_SK_bb.uses_flat_scratch, 0
	.set _ZN7rocprim17ROCPRIM_304000_NS6detail20lookback_scan_kernelILNS1_25lookback_scan_determinismE0ELb0ENS1_19wrapped_scan_configINS0_14default_configEiEEPKiPlSt4plusIvEiiNS1_19lookback_scan_stateIiLb1ELb1EEEEEvT2_T3_mT5_T4_T7_jPT6_SK_bb.has_dyn_sized_stack, 0
	.set _ZN7rocprim17ROCPRIM_304000_NS6detail20lookback_scan_kernelILNS1_25lookback_scan_determinismE0ELb0ENS1_19wrapped_scan_configINS0_14default_configEiEEPKiPlSt4plusIvEiiNS1_19lookback_scan_stateIiLb1ELb1EEEEEvT2_T3_mT5_T4_T7_jPT6_SK_bb.has_recursion, 0
	.set _ZN7rocprim17ROCPRIM_304000_NS6detail20lookback_scan_kernelILNS1_25lookback_scan_determinismE0ELb0ENS1_19wrapped_scan_configINS0_14default_configEiEEPKiPlSt4plusIvEiiNS1_19lookback_scan_stateIiLb1ELb1EEEEEvT2_T3_mT5_T4_T7_jPT6_SK_bb.has_indirect_call, 0
	.section	.AMDGPU.csdata,"",@progbits
; Kernel info:
; codeLenInByte = 4
; TotalNumSgprs: 6
; NumVgprs: 0
; NumAgprs: 0
; TotalNumVgprs: 0
; ScratchSize: 0
; MemoryBound: 0
; FloatMode: 240
; IeeeMode: 1
; LDSByteSize: 0 bytes/workgroup (compile time only)
; SGPRBlocks: 0
; VGPRBlocks: 0
; NumSGPRsForWavesPerEU: 6
; NumVGPRsForWavesPerEU: 1
; AccumOffset: 4
; Occupancy: 8
; WaveLimiterHint : 0
; COMPUTE_PGM_RSRC2:SCRATCH_EN: 0
; COMPUTE_PGM_RSRC2:USER_SGPR: 2
; COMPUTE_PGM_RSRC2:TRAP_HANDLER: 0
; COMPUTE_PGM_RSRC2:TGID_X_EN: 1
; COMPUTE_PGM_RSRC2:TGID_Y_EN: 0
; COMPUTE_PGM_RSRC2:TGID_Z_EN: 0
; COMPUTE_PGM_RSRC2:TIDIG_COMP_CNT: 0
; COMPUTE_PGM_RSRC3_GFX90A:ACCUM_OFFSET: 0
; COMPUTE_PGM_RSRC3_GFX90A:TG_SPLIT: 0
	.section	.text._ZN7rocprim17ROCPRIM_304000_NS6detail20lookback_scan_kernelILNS1_25lookback_scan_determinismE0ELb0ENS1_19wrapped_scan_configINS0_14default_configEiEEPKiPlSt4plusIvEiiNS1_19lookback_scan_stateIiLb0ELb1EEEEEvT2_T3_mT5_T4_T7_jPT6_SK_bb,"axG",@progbits,_ZN7rocprim17ROCPRIM_304000_NS6detail20lookback_scan_kernelILNS1_25lookback_scan_determinismE0ELb0ENS1_19wrapped_scan_configINS0_14default_configEiEEPKiPlSt4plusIvEiiNS1_19lookback_scan_stateIiLb0ELb1EEEEEvT2_T3_mT5_T4_T7_jPT6_SK_bb,comdat
	.protected	_ZN7rocprim17ROCPRIM_304000_NS6detail20lookback_scan_kernelILNS1_25lookback_scan_determinismE0ELb0ENS1_19wrapped_scan_configINS0_14default_configEiEEPKiPlSt4plusIvEiiNS1_19lookback_scan_stateIiLb0ELb1EEEEEvT2_T3_mT5_T4_T7_jPT6_SK_bb ; -- Begin function _ZN7rocprim17ROCPRIM_304000_NS6detail20lookback_scan_kernelILNS1_25lookback_scan_determinismE0ELb0ENS1_19wrapped_scan_configINS0_14default_configEiEEPKiPlSt4plusIvEiiNS1_19lookback_scan_stateIiLb0ELb1EEEEEvT2_T3_mT5_T4_T7_jPT6_SK_bb
	.globl	_ZN7rocprim17ROCPRIM_304000_NS6detail20lookback_scan_kernelILNS1_25lookback_scan_determinismE0ELb0ENS1_19wrapped_scan_configINS0_14default_configEiEEPKiPlSt4plusIvEiiNS1_19lookback_scan_stateIiLb0ELb1EEEEEvT2_T3_mT5_T4_T7_jPT6_SK_bb
	.p2align	8
	.type	_ZN7rocprim17ROCPRIM_304000_NS6detail20lookback_scan_kernelILNS1_25lookback_scan_determinismE0ELb0ENS1_19wrapped_scan_configINS0_14default_configEiEEPKiPlSt4plusIvEiiNS1_19lookback_scan_stateIiLb0ELb1EEEEEvT2_T3_mT5_T4_T7_jPT6_SK_bb,@function
_ZN7rocprim17ROCPRIM_304000_NS6detail20lookback_scan_kernelILNS1_25lookback_scan_determinismE0ELb0ENS1_19wrapped_scan_configINS0_14default_configEiEEPKiPlSt4plusIvEiiNS1_19lookback_scan_stateIiLb0ELb1EEEEEvT2_T3_mT5_T4_T7_jPT6_SK_bb: ; @_ZN7rocprim17ROCPRIM_304000_NS6detail20lookback_scan_kernelILNS1_25lookback_scan_determinismE0ELb0ENS1_19wrapped_scan_configINS0_14default_configEiEEPKiPlSt4plusIvEiiNS1_19lookback_scan_stateIiLb0ELb1EEEEEvT2_T3_mT5_T4_T7_jPT6_SK_bb
; %bb.0:
	s_load_dword s3, s[0:1], 0x28
	s_load_dwordx4 s[20:23], s[0:1], 0x0
	s_load_dwordx2 s[4:5], s[0:1], 0x10
	s_mul_i32 s24, s2, 0xe00
	s_mov_b32 s25, 0
	s_waitcnt lgkmcnt(0)
	s_add_i32 s3, s3, -1
	s_mul_i32 s6, s3, 0xe00
	s_sub_u32 s28, s4, s6
	s_subb_u32 s29, s5, 0
	s_cmp_lg_u32 s2, s3
	s_cselect_b64 s[26:27], -1, 0
	s_lshl_b64 s[4:5], s[24:25], 2
	s_add_u32 s6, s20, s4
	s_addc_u32 s7, s21, s5
	s_mov_b64 s[4:5], -1
	s_and_b64 vcc, exec, s[26:27]
	v_lshlrev_b32_e32 v30, 2, v0
	s_cbranch_vccz .LBB13_2
; %bb.1:
	v_mov_b32_e32 v31, 0
	v_lshl_add_u64 v[2:3], s[6:7], 0, v[30:31]
	v_add_co_u32_e32 v4, vcc, 0x1000, v2
	global_load_dword v1, v30, s[6:7]
	global_load_dword v8, v30, s[6:7] offset:1024
	global_load_dword v9, v30, s[6:7] offset:2048
	;; [unrolled: 1-line block ×3, first 2 shown]
	v_addc_co_u32_e32 v5, vcc, 0, v3, vcc
	v_add_co_u32_e32 v6, vcc, 0x2000, v2
	s_mov_b64 s[4:5], 0
	s_nop 0
	v_addc_co_u32_e32 v7, vcc, 0, v3, vcc
	v_add_co_u32_e32 v2, vcc, 0x3000, v2
	global_load_dword v11, v[4:5], off
	global_load_dword v12, v[4:5], off offset:1024
	global_load_dword v13, v[4:5], off offset:2048
	;; [unrolled: 1-line block ×3, first 2 shown]
	global_load_dword v15, v[6:7], off
	global_load_dword v16, v[6:7], off offset:1024
	global_load_dword v17, v[6:7], off offset:2048
	;; [unrolled: 1-line block ×3, first 2 shown]
	v_addc_co_u32_e32 v3, vcc, 0, v3, vcc
	global_load_dword v4, v[2:3], off
	global_load_dword v5, v[2:3], off offset:1024
	s_waitcnt vmcnt(12)
	ds_write2st64_b32 v30, v1, v8 offset1:4
	s_waitcnt vmcnt(10)
	ds_write2st64_b32 v30, v9, v10 offset0:8 offset1:12
	s_waitcnt vmcnt(8)
	ds_write2st64_b32 v30, v11, v12 offset0:16 offset1:20
	s_waitcnt vmcnt(6)
	ds_write2st64_b32 v30, v13, v14 offset0:24 offset1:28
	s_waitcnt vmcnt(4)
	ds_write2st64_b32 v30, v15, v16 offset0:32 offset1:36
	s_waitcnt vmcnt(2)
	ds_write2st64_b32 v30, v17, v18 offset0:40 offset1:44
	s_waitcnt vmcnt(0)
	ds_write2st64_b32 v30, v4, v5 offset0:48 offset1:52
	s_waitcnt lgkmcnt(0)
	s_barrier
.LBB13_2:
	s_andn2_b64 vcc, exec, s[4:5]
	v_cmp_gt_u32_e64 s[4:5], s28, v0
	s_cbranch_vccnz .LBB13_32
; %bb.3:
	s_load_dword s8, s[6:7], 0x0
	v_mov_b32_e32 v31, 0
	v_lshl_add_u64 v[18:19], s[6:7], 0, v[30:31]
	s_waitcnt lgkmcnt(0)
	s_mov_b32 s9, s8
	s_mov_b32 s10, s8
	;; [unrolled: 1-line block ×13, first 2 shown]
	v_mov_b64_e32 v[2:3], s[8:9]
	v_mov_b64_e32 v[4:5], s[10:11]
	;; [unrolled: 1-line block ×7, first 2 shown]
	v_mov_b32_e32 v1, s8
	v_mov_b64_e32 v[16:17], s[22:23]
	s_and_saveexec_b64 s[6:7], s[4:5]
	s_cbranch_execz .LBB13_5
; %bb.4:
	global_load_dword v1, v[18:19], off
	v_mov_b32_e32 v3, s8
	v_mov_b32_e32 v4, s8
	;; [unrolled: 1-line block ×13, first 2 shown]
.LBB13_5:
	s_or_b64 exec, exec, s[6:7]
	v_or_b32_e32 v2, 0x100, v0
	v_cmp_gt_u32_e32 vcc, s28, v2
	s_and_saveexec_b64 s[4:5], vcc
	s_cbranch_execz .LBB13_7
; %bb.6:
	global_load_dword v3, v[18:19], off offset:1024
.LBB13_7:
	s_or_b64 exec, exec, s[4:5]
	v_or_b32_e32 v2, 0x200, v0
	v_cmp_gt_u32_e32 vcc, s28, v2
	s_and_saveexec_b64 s[4:5], vcc
	s_cbranch_execz .LBB13_9
; %bb.8:
	global_load_dword v4, v[18:19], off offset:2048
.LBB13_9:
	;; [unrolled: 8-line block ×3, first 2 shown]
	s_or_b64 exec, exec, s[4:5]
	v_or_b32_e32 v2, 0x400, v0
	v_cmp_gt_u32_e32 vcc, s28, v2
	s_and_saveexec_b64 s[4:5], vcc
	s_cbranch_execz .LBB13_13
; %bb.12:
	v_add_co_u32_e32 v16, vcc, 0x1000, v18
	s_nop 1
	v_addc_co_u32_e32 v17, vcc, 0, v19, vcc
	global_load_dword v6, v[16:17], off
.LBB13_13:
	s_or_b64 exec, exec, s[4:5]
	v_or_b32_e32 v2, 0x500, v0
	v_cmp_gt_u32_e32 vcc, s28, v2
	s_and_saveexec_b64 s[4:5], vcc
	s_cbranch_execz .LBB13_15
; %bb.14:
	v_add_co_u32_e32 v16, vcc, 0x1000, v18
	s_nop 1
	v_addc_co_u32_e32 v17, vcc, 0, v19, vcc
	global_load_dword v7, v[16:17], off offset:1024
.LBB13_15:
	s_or_b64 exec, exec, s[4:5]
	v_or_b32_e32 v2, 0x600, v0
	v_cmp_gt_u32_e32 vcc, s28, v2
	s_and_saveexec_b64 s[4:5], vcc
	s_cbranch_execz .LBB13_17
; %bb.16:
	v_add_co_u32_e32 v16, vcc, 0x1000, v18
	s_nop 1
	v_addc_co_u32_e32 v17, vcc, 0, v19, vcc
	global_load_dword v8, v[16:17], off offset:2048
.LBB13_17:
	;; [unrolled: 11-line block ×3, first 2 shown]
	s_or_b64 exec, exec, s[4:5]
	v_or_b32_e32 v2, 0x800, v0
	v_cmp_gt_u32_e32 vcc, s28, v2
	s_and_saveexec_b64 s[4:5], vcc
	s_cbranch_execz .LBB13_21
; %bb.20:
	v_add_co_u32_e32 v16, vcc, 0x2000, v18
	s_nop 1
	v_addc_co_u32_e32 v17, vcc, 0, v19, vcc
	global_load_dword v10, v[16:17], off
.LBB13_21:
	s_or_b64 exec, exec, s[4:5]
	v_or_b32_e32 v2, 0x900, v0
	v_cmp_gt_u32_e32 vcc, s28, v2
	s_and_saveexec_b64 s[4:5], vcc
	s_cbranch_execz .LBB13_23
; %bb.22:
	v_add_co_u32_e32 v16, vcc, 0x2000, v18
	s_nop 1
	v_addc_co_u32_e32 v17, vcc, 0, v19, vcc
	global_load_dword v11, v[16:17], off offset:1024
.LBB13_23:
	s_or_b64 exec, exec, s[4:5]
	v_or_b32_e32 v2, 0xa00, v0
	v_cmp_gt_u32_e32 vcc, s28, v2
	s_and_saveexec_b64 s[4:5], vcc
	s_cbranch_execz .LBB13_25
; %bb.24:
	v_add_co_u32_e32 v16, vcc, 0x2000, v18
	s_nop 1
	v_addc_co_u32_e32 v17, vcc, 0, v19, vcc
	global_load_dword v12, v[16:17], off offset:2048
.LBB13_25:
	;; [unrolled: 11-line block ×3, first 2 shown]
	s_or_b64 exec, exec, s[4:5]
	v_or_b32_e32 v2, 0xc00, v0
	v_cmp_gt_u32_e32 vcc, s28, v2
	s_and_saveexec_b64 s[4:5], vcc
	s_cbranch_execz .LBB13_29
; %bb.28:
	v_add_co_u32_e32 v16, vcc, 0x3000, v18
	s_nop 1
	v_addc_co_u32_e32 v17, vcc, 0, v19, vcc
	global_load_dword v14, v[16:17], off
.LBB13_29:
	s_or_b64 exec, exec, s[4:5]
	v_or_b32_e32 v2, 0xd00, v0
	v_cmp_gt_u32_e32 vcc, s28, v2
	s_and_saveexec_b64 s[4:5], vcc
	s_cbranch_execz .LBB13_31
; %bb.30:
	v_add_co_u32_e32 v16, vcc, 0x3000, v18
	s_nop 1
	v_addc_co_u32_e32 v17, vcc, 0, v19, vcc
	global_load_dword v15, v[16:17], off offset:1024
.LBB13_31:
	s_or_b64 exec, exec, s[4:5]
	s_waitcnt vmcnt(0)
	ds_write2st64_b32 v30, v1, v3 offset1:4
	ds_write2st64_b32 v30, v4, v5 offset0:8 offset1:12
	ds_write2st64_b32 v30, v6, v7 offset0:16 offset1:20
	;; [unrolled: 1-line block ×6, first 2 shown]
	s_waitcnt lgkmcnt(0)
	s_barrier
.LBB13_32:
	v_mul_u32_u24_e32 v1, 56, v0
	ds_read2_b64 v[26:29], v1 offset1:1
	ds_read2_b64 v[22:25], v1 offset0:2 offset1:3
	ds_read2_b64 v[18:21], v1 offset0:4 offset1:5
	ds_read_b64 v[32:33], v1 offset:48
	s_load_dwordx2 s[8:9], s[0:1], 0x20
	s_cmp_lg_u32 s2, 0
	v_mbcnt_lo_u32_b32 v35, -1, 0
	v_lshrrev_b32_e32 v31, 6, v0
	v_or_b32_e32 v34, 63, v0
	s_waitcnt lgkmcnt(0)
	s_barrier
	s_cbranch_scc0 .LBB13_54
; %bb.33:
	v_add_u32_e32 v2, v27, v26
	v_add3_u32 v2, v2, v28, v29
	v_add3_u32 v2, v2, v22, v23
	;; [unrolled: 1-line block ×5, first 2 shown]
	v_mbcnt_hi_u32_b32 v5, -1, v35
	v_add3_u32 v2, v2, v32, v33
	v_and_b32_e32 v3, 15, v5
	v_cmp_ne_u32_e32 vcc, 0, v3
	v_mov_b32_dpp v4, v2 row_shr:1 row_mask:0xf bank_mask:0xf
	s_nop 0
	v_cndmask_b32_e32 v4, 0, v4, vcc
	v_add_u32_e32 v2, v4, v2
	v_cmp_lt_u32_e32 vcc, 1, v3
	s_nop 0
	v_mov_b32_dpp v4, v2 row_shr:2 row_mask:0xf bank_mask:0xf
	v_cndmask_b32_e32 v4, 0, v4, vcc
	v_add_u32_e32 v2, v2, v4
	v_cmp_lt_u32_e32 vcc, 3, v3
	s_nop 0
	v_mov_b32_dpp v4, v2 row_shr:4 row_mask:0xf bank_mask:0xf
	;; [unrolled: 5-line block ×3, first 2 shown]
	v_cndmask_b32_e32 v3, 0, v4, vcc
	v_add_u32_e32 v2, v2, v3
	v_bfe_i32 v4, v5, 4, 1
	v_cmp_lt_u32_e32 vcc, 31, v5
	v_mov_b32_dpp v3, v2 row_bcast:15 row_mask:0xf bank_mask:0xf
	v_and_b32_e32 v3, v4, v3
	v_add_u32_e32 v2, v2, v3
	s_nop 1
	v_mov_b32_dpp v3, v2 row_bcast:31 row_mask:0xf bank_mask:0xf
	v_cndmask_b32_e32 v3, 0, v3, vcc
	v_add_u32_e32 v2, v2, v3
	v_cmp_eq_u32_e32 vcc, v0, v34
	s_and_saveexec_b64 s[4:5], vcc
; %bb.34:
	v_lshlrev_b32_e32 v3, 2, v31
	ds_write_b32 v3, v2
; %bb.35:
	s_or_b64 exec, exec, s[4:5]
	v_cmp_gt_u32_e32 vcc, 4, v0
	s_waitcnt lgkmcnt(0)
	s_barrier
	s_and_saveexec_b64 s[4:5], vcc
	s_cbranch_execz .LBB13_37
; %bb.36:
	ds_read_b32 v3, v30
	v_and_b32_e32 v4, 3, v5
	v_cmp_ne_u32_e32 vcc, 0, v4
	s_waitcnt lgkmcnt(0)
	v_mov_b32_dpp v6, v3 row_shr:1 row_mask:0xf bank_mask:0xf
	v_cndmask_b32_e32 v6, 0, v6, vcc
	v_add_u32_e32 v3, v6, v3
	v_cmp_lt_u32_e32 vcc, 1, v4
	s_nop 0
	v_mov_b32_dpp v6, v3 row_shr:2 row_mask:0xf bank_mask:0xf
	v_cndmask_b32_e32 v4, 0, v6, vcc
	v_add_u32_e32 v3, v3, v4
	ds_write_b32 v30, v3
.LBB13_37:
	s_or_b64 exec, exec, s[4:5]
	v_cmp_gt_u32_e32 vcc, 64, v0
	v_cmp_lt_u32_e64 s[4:5], 63, v0
	s_waitcnt lgkmcnt(0)
	s_barrier
                                        ; implicit-def: $vgpr12
	s_and_saveexec_b64 s[6:7], s[4:5]
	s_cbranch_execz .LBB13_39
; %bb.38:
	v_lshl_add_u32 v3, v31, 2, -4
	ds_read_b32 v12, v3
	s_waitcnt lgkmcnt(0)
	v_add_u32_e32 v2, v12, v2
.LBB13_39:
	s_or_b64 exec, exec, s[6:7]
	v_subrev_co_u32_e64 v3, s[4:5], 1, v5
	v_and_b32_e32 v4, 64, v5
	v_cmp_lt_i32_e64 s[6:7], v3, v4
	s_nop 1
	v_cndmask_b32_e64 v3, v3, v5, s[6:7]
	v_lshlrev_b32_e32 v3, 2, v3
	ds_bpermute_b32 v13, v3, v2
	s_and_saveexec_b64 s[6:7], vcc
	s_cbranch_execz .LBB13_59
; %bb.40:
	v_mov_b32_e32 v9, 0
	ds_read_b32 v2, v9 offset:12
	s_and_saveexec_b64 s[10:11], s[4:5]
	s_cbranch_execz .LBB13_42
; %bb.41:
	s_add_i32 s12, s2, 64
	s_mov_b32 s13, 0
	s_lshl_b64 s[12:13], s[12:13], 3
	s_add_u32 s12, s8, s12
	v_mov_b32_e32 v3, 1
	s_addc_u32 s13, s9, s13
	s_waitcnt lgkmcnt(0)
	global_store_dwordx2 v9, v[2:3], s[12:13] sc1
.LBB13_42:
	s_or_b64 exec, exec, s[10:11]
	v_xad_u32 v4, v5, -1, s2
	v_add_u32_e32 v8, 64, v4
	v_lshl_add_u64 v[10:11], v[8:9], 3, s[8:9]
	global_load_dwordx2 v[6:7], v[10:11], off sc1
	s_waitcnt vmcnt(0)
	v_cmp_eq_u16_sdwa s[12:13], v7, v9 src0_sel:BYTE_0 src1_sel:DWORD
	s_and_saveexec_b64 s[10:11], s[12:13]
	s_cbranch_execz .LBB13_46
; %bb.43:
	s_mov_b64 s[12:13], 0
	v_mov_b32_e32 v3, 0
.LBB13_44:                              ; =>This Inner Loop Header: Depth=1
	global_load_dwordx2 v[6:7], v[10:11], off sc1
	s_waitcnt vmcnt(0)
	v_cmp_ne_u16_sdwa s[14:15], v7, v3 src0_sel:BYTE_0 src1_sel:DWORD
	s_or_b64 s[12:13], s[14:15], s[12:13]
	s_andn2_b64 exec, exec, s[12:13]
	s_cbranch_execnz .LBB13_44
; %bb.45:
	s_or_b64 exec, exec, s[12:13]
.LBB13_46:
	s_or_b64 exec, exec, s[10:11]
	v_and_b32_e32 v38, 63, v5
	v_mov_b32_e32 v3, 2
	v_cmp_ne_u32_e32 vcc, 63, v38
	v_cmp_eq_u16_sdwa s[10:11], v7, v3 src0_sel:BYTE_0 src1_sel:DWORD
	v_lshlrev_b64 v[8:9], v5, -1
	v_addc_co_u32_e32 v14, vcc, 0, v5, vcc
	v_and_b32_e32 v10, s11, v9
	v_lshlrev_b32_e32 v14, 2, v14
	v_or_b32_e32 v10, 0x80000000, v10
	ds_bpermute_b32 v16, v14, v6
	v_and_b32_e32 v11, s10, v8
	v_ffbl_b32_e32 v10, v10
	v_add_u32_e32 v10, 32, v10
	v_ffbl_b32_e32 v11, v11
	v_min_u32_e32 v10, v11, v10
	v_add_u32_e32 v15, 1, v5
	v_cmp_le_u32_e32 vcc, v15, v10
	v_add_u32_e32 v17, 2, v5
	v_add_u32_e32 v37, 4, v5
	s_waitcnt lgkmcnt(0)
	v_cndmask_b32_e32 v11, 0, v16, vcc
	v_cmp_gt_u32_e32 vcc, 62, v38
	v_add_u32_e32 v6, v11, v6
	v_add_u32_e32 v40, 8, v5
	v_cndmask_b32_e64 v11, 0, 2, vcc
	v_add_lshl_u32 v16, v11, v5, 2
	ds_bpermute_b32 v11, v16, v6
	v_cmp_le_u32_e32 vcc, v17, v10
	v_add_u32_e32 v42, 16, v5
	v_add_u32_e32 v44, 32, v5
	s_waitcnt lgkmcnt(0)
	v_cndmask_b32_e32 v11, 0, v11, vcc
	v_cmp_gt_u32_e32 vcc, 60, v38
	v_add_u32_e32 v6, v6, v11
	s_nop 0
	v_cndmask_b32_e64 v11, 0, 4, vcc
	v_add_lshl_u32 v36, v11, v5, 2
	ds_bpermute_b32 v11, v36, v6
	v_cmp_le_u32_e32 vcc, v37, v10
	s_waitcnt lgkmcnt(0)
	s_nop 0
	v_cndmask_b32_e32 v11, 0, v11, vcc
	v_cmp_gt_u32_e32 vcc, 56, v38
	v_add_u32_e32 v6, v6, v11
	s_nop 0
	v_cndmask_b32_e64 v11, 0, 8, vcc
	v_add_lshl_u32 v39, v11, v5, 2
	ds_bpermute_b32 v11, v39, v6
	v_cmp_le_u32_e32 vcc, v40, v10
	s_waitcnt lgkmcnt(0)
	s_nop 0
	;; [unrolled: 10-line block ×3, first 2 shown]
	v_cndmask_b32_e32 v11, 0, v11, vcc
	v_add_u32_e32 v6, v6, v11
	v_mov_b32_e32 v11, 0x80
	v_lshl_or_b32 v43, v5, 2, v11
	ds_bpermute_b32 v11, v43, v6
	v_cmp_le_u32_e32 vcc, v44, v10
	s_waitcnt lgkmcnt(0)
	s_nop 0
	v_cndmask_b32_e32 v5, 0, v11, vcc
	v_add_u32_e32 v6, v6, v5
	v_mov_b32_e32 v5, 0
	s_branch .LBB13_50
.LBB13_47:                              ;   in Loop: Header=BB13_50 Depth=1
	s_or_b64 exec, exec, s[12:13]
.LBB13_48:                              ;   in Loop: Header=BB13_50 Depth=1
	s_or_b64 exec, exec, s[10:11]
	v_cmp_eq_u16_sdwa s[10:11], v7, v3 src0_sel:BYTE_0 src1_sel:DWORD
	ds_bpermute_b32 v45, v14, v6
	v_subrev_u32_e32 v4, 64, v4
	v_and_b32_e32 v10, s11, v9
	v_or_b32_e32 v10, 0x80000000, v10
	v_and_b32_e32 v11, s10, v8
	v_ffbl_b32_e32 v10, v10
	v_add_u32_e32 v10, 32, v10
	v_ffbl_b32_e32 v11, v11
	v_min_u32_e32 v10, v11, v10
	v_cmp_le_u32_e32 vcc, v15, v10
	s_mov_b64 s[10:11], 0
	s_waitcnt lgkmcnt(0)
	v_cndmask_b32_e32 v11, 0, v45, vcc
	v_add_u32_e32 v6, v11, v6
	ds_bpermute_b32 v11, v16, v6
	v_cmp_le_u32_e32 vcc, v17, v10
	s_waitcnt lgkmcnt(0)
	s_nop 0
	v_cndmask_b32_e32 v11, 0, v11, vcc
	v_add_u32_e32 v6, v6, v11
	ds_bpermute_b32 v11, v36, v6
	v_cmp_le_u32_e32 vcc, v37, v10
	s_waitcnt lgkmcnt(0)
	s_nop 0
	;; [unrolled: 6-line block ×5, first 2 shown]
	v_cndmask_b32_e32 v10, 0, v11, vcc
	v_add3_u32 v6, v10, v38, v6
.LBB13_49:                              ;   in Loop: Header=BB13_50 Depth=1
	s_and_b64 vcc, exec, s[10:11]
	s_cbranch_vccnz .LBB13_55
.LBB13_50:                              ; =>This Loop Header: Depth=1
                                        ;     Child Loop BB13_53 Depth 2
	v_cmp_ne_u16_sdwa s[10:11], v7, v3 src0_sel:BYTE_0 src1_sel:DWORD
	v_mov_b32_e32 v38, v6
	s_cmp_lg_u64 s[10:11], exec
	s_mov_b64 s[10:11], -1
                                        ; implicit-def: $vgpr6
                                        ; implicit-def: $vgpr7
	s_cbranch_scc1 .LBB13_49
; %bb.51:                               ;   in Loop: Header=BB13_50 Depth=1
	v_lshl_add_u64 v[10:11], v[4:5], 3, s[8:9]
	global_load_dwordx2 v[6:7], v[10:11], off sc1
	s_waitcnt vmcnt(0)
	v_cmp_eq_u16_sdwa s[12:13], v7, v5 src0_sel:BYTE_0 src1_sel:DWORD
	s_and_saveexec_b64 s[10:11], s[12:13]
	s_cbranch_execz .LBB13_48
; %bb.52:                               ;   in Loop: Header=BB13_50 Depth=1
	s_mov_b64 s[12:13], 0
.LBB13_53:                              ;   Parent Loop BB13_50 Depth=1
                                        ; =>  This Inner Loop Header: Depth=2
	global_load_dwordx2 v[6:7], v[10:11], off sc1
	s_waitcnt vmcnt(0)
	v_cmp_ne_u16_sdwa s[14:15], v7, v5 src0_sel:BYTE_0 src1_sel:DWORD
	s_or_b64 s[12:13], s[14:15], s[12:13]
	s_andn2_b64 exec, exec, s[12:13]
	s_cbranch_execnz .LBB13_53
	s_branch .LBB13_47
.LBB13_54:
                                        ; implicit-def: $vgpr2_vgpr3_vgpr4_vgpr5_vgpr6_vgpr7_vgpr8_vgpr9_vgpr10_vgpr11_vgpr12_vgpr13_vgpr14_vgpr15_vgpr16_vgpr17
	s_load_dwordx4 s[4:7], s[0:1], 0x30
	s_cbranch_execnz .LBB13_60
	s_branch .LBB13_71
.LBB13_55:
	s_and_saveexec_b64 s[10:11], s[4:5]
	s_cbranch_execz .LBB13_57
; %bb.56:
	s_add_i32 s2, s2, 64
	s_mov_b32 s3, 0
	s_lshl_b64 s[2:3], s[2:3], 3
	s_add_u32 s2, s8, s2
	v_add_u32_e32 v2, v38, v2
	v_mov_b32_e32 v3, 2
	s_addc_u32 s3, s9, s3
	v_mov_b32_e32 v4, 0
	global_store_dwordx2 v4, v[2:3], s[2:3] sc1
.LBB13_57:
	s_or_b64 exec, exec, s[10:11]
	v_cmp_eq_u32_e32 vcc, 0, v0
	s_and_b64 exec, exec, vcc
; %bb.58:
	v_mov_b32_e32 v2, 0
	ds_write_b32 v2, v38 offset:12
.LBB13_59:
	s_or_b64 exec, exec, s[6:7]
	v_mov_b32_e32 v2, 0
	s_waitcnt lgkmcnt(0)
	s_barrier
	ds_read_b32 v2, v2 offset:12
	v_cndmask_b32_e64 v3, v13, v12, s[4:5]
	v_cmp_ne_u32_e32 vcc, 0, v0
	s_nop 1
	v_cndmask_b32_e32 v3, 0, v3, vcc
	s_waitcnt lgkmcnt(0)
	v_add3_u32 v2, v3, v26, v2
	v_add_u32_e32 v3, v2, v27
	v_add_u32_e32 v4, v3, v28
	;; [unrolled: 1-line block ×13, first 2 shown]
	s_load_dwordx4 s[4:7], s[0:1], 0x30
	s_branch .LBB13_71
.LBB13_60:
	s_load_dword s2, s[0:1], 0x40
	v_cmp_eq_u32_e32 vcc, 0, v0
	s_waitcnt lgkmcnt(0)
	s_bitcmp1_b32 s2, 0
	s_cselect_b64 s[2:3], -1, 0
	s_and_b64 s[10:11], vcc, s[2:3]
	s_and_saveexec_b64 s[2:3], s[10:11]
	s_cbranch_execz .LBB13_62
; %bb.61:
	v_mov_b32_e32 v2, 0
	global_load_dword v2, v2, s[4:5]
	s_waitcnt vmcnt(0)
	v_add_u32_e32 v26, v2, v26
.LBB13_62:
	s_or_b64 exec, exec, s[2:3]
	v_add_u32_e32 v2, v27, v26
	v_add3_u32 v2, v2, v28, v29
	v_add3_u32 v2, v2, v22, v23
	v_add3_u32 v2, v2, v24, v25
	v_add3_u32 v2, v2, v18, v19
	v_add3_u32 v2, v2, v20, v21
	v_add3_u32 v3, v2, v32, v33
	v_mbcnt_hi_u32_b32 v2, -1, v35
	v_and_b32_e32 v4, 15, v2
	v_mov_b32_dpp v5, v3 row_shr:1 row_mask:0xf bank_mask:0xf
	v_cmp_ne_u32_e64 s[2:3], 0, v4
	s_nop 1
	v_cndmask_b32_e64 v5, 0, v5, s[2:3]
	v_add_u32_e32 v3, v3, v5
	v_cmp_lt_u32_e64 s[2:3], 1, v4
	s_nop 0
	v_mov_b32_dpp v5, v3 row_shr:2 row_mask:0xf bank_mask:0xf
	v_cndmask_b32_e64 v5, 0, v5, s[2:3]
	v_add_u32_e32 v3, v3, v5
	v_cmp_lt_u32_e64 s[2:3], 3, v4
	s_nop 0
	v_mov_b32_dpp v5, v3 row_shr:4 row_mask:0xf bank_mask:0xf
	;; [unrolled: 5-line block ×3, first 2 shown]
	v_cndmask_b32_e64 v4, 0, v5, s[2:3]
	v_add_u32_e32 v3, v3, v4
	v_bfe_i32 v5, v2, 4, 1
	v_cmp_lt_u32_e64 s[2:3], 31, v2
	v_mov_b32_dpp v4, v3 row_bcast:15 row_mask:0xf bank_mask:0xf
	v_and_b32_e32 v4, v5, v4
	v_add_u32_e32 v3, v3, v4
	s_nop 1
	v_mov_b32_dpp v4, v3 row_bcast:31 row_mask:0xf bank_mask:0xf
	v_cndmask_b32_e64 v4, 0, v4, s[2:3]
	v_add_u32_e32 v3, v3, v4
	v_cmp_eq_u32_e64 s[2:3], v0, v34
	s_and_saveexec_b64 s[4:5], s[2:3]
; %bb.63:
	v_lshlrev_b32_e32 v4, 2, v31
	ds_write_b32 v4, v3
; %bb.64:
	s_or_b64 exec, exec, s[4:5]
	v_cmp_gt_u32_e64 s[2:3], 4, v0
	s_waitcnt lgkmcnt(0)
	s_barrier
	s_and_saveexec_b64 s[4:5], s[2:3]
	s_cbranch_execz .LBB13_66
; %bb.65:
	s_movk_i32 s2, 0xffcc
	v_mad_i32_i24 v4, v0, s2, v1
	ds_read_b32 v5, v4
	v_and_b32_e32 v6, 3, v2
	v_cmp_ne_u32_e64 s[2:3], 0, v6
	s_waitcnt lgkmcnt(0)
	v_mov_b32_dpp v7, v5 row_shr:1 row_mask:0xf bank_mask:0xf
	v_cndmask_b32_e64 v7, 0, v7, s[2:3]
	v_add_u32_e32 v5, v7, v5
	v_cmp_lt_u32_e64 s[2:3], 1, v6
	s_nop 0
	v_mov_b32_dpp v7, v5 row_shr:2 row_mask:0xf bank_mask:0xf
	v_cndmask_b32_e64 v6, 0, v7, s[2:3]
	v_add_u32_e32 v5, v5, v6
	ds_write_b32 v4, v5
.LBB13_66:
	s_or_b64 exec, exec, s[4:5]
	v_cmp_lt_u32_e64 s[2:3], 63, v0
	s_waitcnt lgkmcnt(0)
	s_barrier
                                        ; implicit-def: $vgpr4
	s_and_saveexec_b64 s[4:5], s[2:3]
	s_cbranch_execz .LBB13_68
; %bb.67:
	v_lshl_add_u32 v4, v31, 2, -4
	ds_read_b32 v4, v4
	s_waitcnt lgkmcnt(0)
	v_add_u32_e32 v3, v4, v3
.LBB13_68:
	s_or_b64 exec, exec, s[4:5]
	v_subrev_co_u32_e64 v5, s[2:3], 1, v2
	v_and_b32_e32 v6, 64, v2
	v_cmp_lt_i32_e64 s[4:5], v5, v6
	s_nop 1
	v_cndmask_b32_e64 v2, v5, v2, s[4:5]
	v_lshlrev_b32_e32 v2, 2, v2
	ds_bpermute_b32 v2, v2, v3
	s_waitcnt lgkmcnt(0)
	v_cndmask_b32_e64 v2, v2, v4, s[2:3]
	v_cndmask_b32_e64 v2, v2, 0, vcc
	v_add_u32_e32 v2, v2, v26
	v_add_u32_e32 v3, v2, v27
	;; [unrolled: 1-line block ×14, first 2 shown]
	s_and_saveexec_b64 s[2:3], vcc
	s_cbranch_execz .LBB13_70
; %bb.69:
	v_mov_b32_e32 v16, 0
	ds_read_b32 v18, v16 offset:12
	v_mov_b32_e32 v19, 2
	s_waitcnt lgkmcnt(0)
	global_store_dwordx2 v16, v[18:19], s[8:9] offset:512 sc1
.LBB13_70:
	s_or_b64 exec, exec, s[2:3]
.LBB13_71:
	s_lshl_b64 s[2:3], s[24:25], 3
	s_add_u32 s2, s22, s2
	s_addc_u32 s3, s23, s3
	s_waitcnt lgkmcnt(0)
	s_mov_b64 s[4:5], -1
	s_and_b64 vcc, exec, s[26:27]
	v_lshlrev_b32_e32 v16, 3, v0
	s_barrier
	s_cbranch_vccz .LBB13_73
; %bb.72:
	ds_write2_b64 v1, v[2:3], v[4:5] offset1:1
	ds_write2_b64 v1, v[6:7], v[8:9] offset0:2 offset1:3
	ds_write2_b64 v1, v[10:11], v[12:13] offset0:4 offset1:5
	ds_write_b64 v1, v[14:15] offset:48
	s_waitcnt lgkmcnt(0)
	s_barrier
	ds_read2st64_b32 v[18:19], v30 offset1:4
	ds_read2st64_b32 v[22:23], v30 offset0:8 offset1:12
	ds_read2st64_b32 v[32:33], v30 offset0:24 offset1:28
	ds_read2st64_b32 v[40:41], v30 offset0:40 offset1:44
	v_mov_b32_e32 v17, 0
	s_waitcnt lgkmcnt(3)
	v_ashrrev_i32_e32 v21, 31, v18
	v_mov_b32_e32 v20, v18
	v_ashrrev_i32_e32 v25, 31, v19
	v_mov_b32_e32 v24, v19
	ds_read2st64_b32 v[18:19], v30 offset0:16 offset1:20
	s_waitcnt lgkmcnt(3)
	v_ashrrev_i32_e32 v27, 31, v22
	v_mov_b32_e32 v26, v22
	v_ashrrev_i32_e32 v29, 31, v23
	v_mov_b32_e32 v28, v23
	s_waitcnt lgkmcnt(0)
	v_ashrrev_i32_e32 v23, 31, v18
	v_mov_b32_e32 v22, v18
	v_ashrrev_i32_e32 v35, 31, v19
	v_mov_b32_e32 v34, v19
	ds_read2st64_b32 v[18:19], v30 offset0:32 offset1:36
	v_ashrrev_i32_e32 v37, 31, v32
	v_mov_b32_e32 v36, v32
	v_ashrrev_i32_e32 v39, 31, v33
	v_mov_b32_e32 v38, v33
	s_waitcnt lgkmcnt(0)
	v_ashrrev_i32_e32 v33, 31, v18
	v_mov_b32_e32 v32, v18
	v_ashrrev_i32_e32 v43, 31, v19
	v_mov_b32_e32 v42, v19
	ds_read2st64_b32 v[18:19], v30 offset0:48 offset1:52
	v_ashrrev_i32_e32 v45, 31, v40
	v_mov_b32_e32 v44, v40
	v_ashrrev_i32_e32 v47, 31, v41
	v_mov_b32_e32 v46, v41
	s_waitcnt lgkmcnt(0)
	v_ashrrev_i32_e32 v41, 31, v18
	v_mov_b32_e32 v40, v18
	v_ashrrev_i32_e32 v49, 31, v19
	v_mov_b32_e32 v48, v19
	v_lshl_add_u64 v[18:19], s[2:3], 0, v[16:17]
	s_movk_i32 s4, 0x1000
	global_store_dwordx2 v16, v[20:21], s[2:3]
	global_store_dwordx2 v16, v[24:25], s[2:3] offset:2048
	v_add_co_u32_e32 v20, vcc, s4, v18
	s_movk_i32 s4, 0x2000
	s_nop 0
	v_addc_co_u32_e32 v21, vcc, 0, v19, vcc
	v_add_co_u32_e32 v24, vcc, s4, v18
	s_movk_i32 s4, 0x3000
	s_nop 0
	v_addc_co_u32_e32 v25, vcc, 0, v19, vcc
	global_store_dwordx2 v[24:25], v[26:27], off offset:-4096
	global_store_dwordx2 v[20:21], v[28:29], off offset:2048
	global_store_dwordx2 v[24:25], v[22:23], off
	global_store_dwordx2 v[24:25], v[34:35], off offset:2048
	v_add_co_u32_e32 v20, vcc, s4, v18
	s_movk_i32 s4, 0x4000
	s_nop 0
	v_addc_co_u32_e32 v21, vcc, 0, v19, vcc
	v_add_co_u32_e32 v22, vcc, s4, v18
	s_mov_b64 s[4:5], 0
	s_nop 0
	v_addc_co_u32_e32 v23, vcc, 0, v19, vcc
	global_store_dwordx2 v[22:23], v[36:37], off offset:-4096
	global_store_dwordx2 v[20:21], v[38:39], off offset:2048
	global_store_dwordx2 v[22:23], v[32:33], off
	global_store_dwordx2 v[22:23], v[42:43], off offset:2048
	v_add_co_u32_e32 v20, vcc, 0x5000, v18
	s_nop 1
	v_addc_co_u32_e32 v21, vcc, 0, v19, vcc
	v_add_co_u32_e32 v18, vcc, 0x6000, v18
	global_store_dwordx2 v[20:21], v[44:45], off
	global_store_dwordx2 v[20:21], v[46:47], off offset:2048
	v_addc_co_u32_e32 v19, vcc, 0, v19, vcc
	global_store_dwordx2 v[18:19], v[40:41], off
	global_store_dwordx2 v[18:19], v[48:49], off offset:2048
.LBB13_73:
	s_andn2_b64 vcc, exec, s[4:5]
	s_cbranch_vccnz .LBB13_153
; %bb.74:
	ds_write2_b64 v1, v[2:3], v[4:5] offset1:1
	ds_write2_b64 v1, v[6:7], v[8:9] offset0:2 offset1:3
	ds_write2_b64 v1, v[10:11], v[12:13] offset0:4 offset1:5
	ds_write_b64 v1, v[14:15] offset:48
	s_waitcnt lgkmcnt(0)
	s_barrier
	ds_read2st64_b32 v[2:3], v30 offset1:4
	ds_read2st64_b32 v[6:7], v30 offset0:8 offset1:12
	ds_read2st64_b32 v[8:9], v30 offset0:16 offset1:20
	;; [unrolled: 1-line block ×6, first 2 shown]
	v_mov_b32_e32 v17, 0
	v_lshl_add_u64 v[18:19], s[2:3], 0, v[16:17]
	v_cmp_gt_u32_e32 vcc, s28, v0
	s_and_saveexec_b64 s[2:3], vcc
	s_cbranch_execz .LBB13_76
; %bb.75:
	s_waitcnt lgkmcnt(6)
	v_ashrrev_i32_e32 v21, 31, v2
	v_mov_b32_e32 v20, v2
	global_store_dwordx2 v[18:19], v[20:21], off
.LBB13_76:
	s_or_b64 exec, exec, s[2:3]
	v_or_b32_e32 v1, 0x100, v0
	v_cmp_gt_u32_e32 vcc, s28, v1
	s_and_saveexec_b64 s[2:3], vcc
	s_cbranch_execz .LBB13_78
; %bb.77:
	s_waitcnt lgkmcnt(6)
	v_ashrrev_i32_e32 v21, 31, v3
	v_mov_b32_e32 v20, v3
	global_store_dwordx2 v[18:19], v[20:21], off offset:2048
.LBB13_78:
	s_or_b64 exec, exec, s[2:3]
	v_or_b32_e32 v1, 0x200, v0
	v_cmp_gt_u32_e32 vcc, s28, v1
	s_and_saveexec_b64 s[2:3], vcc
	s_cbranch_execz .LBB13_80
; %bb.79:
	v_add_co_u32_e32 v22, vcc, 0x1000, v18
	s_waitcnt lgkmcnt(5)
	v_ashrrev_i32_e32 v21, 31, v6
	v_mov_b32_e32 v20, v6
	v_addc_co_u32_e32 v23, vcc, 0, v19, vcc
	global_store_dwordx2 v[22:23], v[20:21], off
.LBB13_80:
	s_or_b64 exec, exec, s[2:3]
	v_or_b32_e32 v1, 0x300, v0
	v_cmp_gt_u32_e32 vcc, s28, v1
	s_and_saveexec_b64 s[2:3], vcc
	s_cbranch_execz .LBB13_82
; %bb.81:
	v_add_co_u32_e32 v22, vcc, 0x1000, v18
	s_waitcnt lgkmcnt(5)
	v_ashrrev_i32_e32 v21, 31, v7
	v_mov_b32_e32 v20, v7
	v_addc_co_u32_e32 v23, vcc, 0, v19, vcc
	global_store_dwordx2 v[22:23], v[20:21], off offset:2048
.LBB13_82:
	s_or_b64 exec, exec, s[2:3]
	v_or_b32_e32 v1, 0x400, v0
	v_cmp_gt_u32_e32 vcc, s28, v1
	s_and_saveexec_b64 s[2:3], vcc
	s_cbranch_execz .LBB13_84
; %bb.83:
	v_add_co_u32_e32 v22, vcc, 0x2000, v18
	s_waitcnt lgkmcnt(4)
	v_ashrrev_i32_e32 v21, 31, v8
	v_mov_b32_e32 v20, v8
	v_addc_co_u32_e32 v23, vcc, 0, v19, vcc
	global_store_dwordx2 v[22:23], v[20:21], off
.LBB13_84:
	s_or_b64 exec, exec, s[2:3]
	v_or_b32_e32 v1, 0x500, v0
	v_cmp_gt_u32_e32 vcc, s28, v1
	s_and_saveexec_b64 s[2:3], vcc
	s_cbranch_execz .LBB13_86
; %bb.85:
	v_add_co_u32_e32 v22, vcc, 0x2000, v18
	s_waitcnt lgkmcnt(4)
	v_ashrrev_i32_e32 v21, 31, v9
	v_mov_b32_e32 v20, v9
	v_addc_co_u32_e32 v23, vcc, 0, v19, vcc
	global_store_dwordx2 v[22:23], v[20:21], off offset:2048
.LBB13_86:
	;; [unrolled: 26-line block ×6, first 2 shown]
	s_or_b64 exec, exec, s[2:3]
	s_load_dword s0, s[0:1], 0x40
	s_waitcnt lgkmcnt(0)
	s_bfe_u32 s0, s0, 0x10008
	s_cmp_eq_u32 s0, 0
	s_cbranch_scc1 .LBB13_153
; %bb.103:
	s_add_u32 s0, s28, -1
	s_addc_u32 s1, s29, -1
	s_lshr_b64 s[2:3], s[0:1], 1
	s_lshr_b32 s5, s1, 1
	s_mul_hi_u32 s3, s2, 0x49249249
	s_mul_i32 s4, s2, 0x49249249
	s_mul_i32 s9, s5, 0x24924925
	s_mul_hi_u32 s2, s2, 0x24924925
	s_mul_hi_u32 s8, s5, 0x24924925
	s_add_u32 s2, s9, s2
	s_addc_u32 s8, s8, 0
	s_add_u32 s2, s4, s2
	s_addc_u32 s2, s3, 0
	;; [unrolled: 2-line block ×3, first 2 shown]
	s_mul_hi_u32 s4, s5, 0x49249249
	s_mul_i32 s5, s5, 0x49249249
	s_add_u32 s2, s5, s2
	s_addc_u32 s3, s4, s3
	v_mov_b32_e32 v1, v17
	s_lshr_b64 s[2:3], s[2:3], 1
	v_cmp_eq_u64_e32 vcc, s[2:3], v[0:1]
	s_and_saveexec_b64 s[2:3], vcc
	s_cbranch_execz .LBB13_153
; %bb.104:
	v_mul_hi_u32_u24_e32 v1, 14, v0
	v_mul_u32_u24_e32 v0, 14, v0
	v_mov_b32_e32 v16, s1
	v_sub_co_u32_e32 v0, vcc, s0, v0
	s_nop 1
	v_subb_co_u32_e32 v1, vcc, v16, v1, vcc
	v_cmp_lt_i64_e32 vcc, 6, v[0:1]
	s_and_saveexec_b64 s[0:1], vcc
	s_xor_b64 s[0:1], exec, s[0:1]
	s_cbranch_execz .LBB13_130
; %bb.105:
	v_cmp_lt_i64_e32 vcc, 9, v[0:1]
	s_and_saveexec_b64 s[2:3], vcc
	s_xor_b64 s[2:3], exec, s[2:3]
	s_cbranch_execz .LBB13_119
; %bb.106:
	;; [unrolled: 5-line block ×4, first 2 shown]
	v_mov_b32_e32 v0, 0
	global_store_dword v0, v15, s[6:7]
                                        ; implicit-def: $vgpr14_vgpr15
.LBB13_109:
	s_andn2_saveexec_b64 s[8:9], s[8:9]
	s_cbranch_execz .LBB13_111
; %bb.110:
	v_mov_b32_e32 v0, 0
	global_store_dword v0, v14, s[6:7]
.LBB13_111:
	s_or_b64 exec, exec, s[8:9]
                                        ; implicit-def: $vgpr12_vgpr13
                                        ; implicit-def: $vgpr0_vgpr1
.LBB13_112:
	s_andn2_saveexec_b64 s[4:5], s[4:5]
	s_cbranch_execz .LBB13_118
; %bb.113:
	v_cmp_lt_i64_e32 vcc, 10, v[0:1]
	s_and_saveexec_b64 s[8:9], vcc
	s_xor_b64 s[8:9], exec, s[8:9]
	s_cbranch_execz .LBB13_115
; %bb.114:
	v_mov_b32_e32 v0, 0
	global_store_dword v0, v13, s[6:7]
                                        ; implicit-def: $vgpr12_vgpr13
.LBB13_115:
	s_andn2_saveexec_b64 s[8:9], s[8:9]
	s_cbranch_execz .LBB13_117
; %bb.116:
	v_mov_b32_e32 v0, 0
	global_store_dword v0, v12, s[6:7]
.LBB13_117:
	s_or_b64 exec, exec, s[8:9]
.LBB13_118:
	s_or_b64 exec, exec, s[4:5]
                                        ; implicit-def: $vgpr4_vgpr5
                                        ; implicit-def: $vgpr0_vgpr1
                                        ; implicit-def: $vgpr10_vgpr11
.LBB13_119:
	s_andn2_saveexec_b64 s[2:3], s[2:3]
	s_cbranch_execz .LBB13_129
; %bb.120:
	v_cmp_lt_i64_e32 vcc, 7, v[0:1]
	s_and_saveexec_b64 s[4:5], vcc
	s_xor_b64 s[4:5], exec, s[4:5]
	s_cbranch_execz .LBB13_126
; %bb.121:
	v_cmp_lt_i64_e32 vcc, 8, v[0:1]
	s_and_saveexec_b64 s[8:9], vcc
	s_xor_b64 s[8:9], exec, s[8:9]
	s_cbranch_execz .LBB13_123
; %bb.122:
	v_mov_b32_e32 v0, 0
	global_store_dword v0, v11, s[6:7]
                                        ; implicit-def: $vgpr10_vgpr11
.LBB13_123:
	s_andn2_saveexec_b64 s[8:9], s[8:9]
	s_cbranch_execz .LBB13_125
; %bb.124:
	v_mov_b32_e32 v0, 0
	global_store_dword v0, v10, s[6:7]
.LBB13_125:
	s_or_b64 exec, exec, s[8:9]
                                        ; implicit-def: $vgpr4_vgpr5
.LBB13_126:
	s_andn2_saveexec_b64 s[4:5], s[4:5]
	s_cbranch_execz .LBB13_128
; %bb.127:
	v_mov_b32_e32 v0, 0
	global_store_dword v0, v5, s[6:7]
.LBB13_128:
	s_or_b64 exec, exec, s[4:5]
.LBB13_129:
	s_or_b64 exec, exec, s[2:3]
                                        ; implicit-def: $vgpr0_vgpr1
                                        ; implicit-def: $vgpr8_vgpr9
                                        ; implicit-def: $vgpr2_vgpr3
                                        ; implicit-def: $vgpr6_vgpr7
                                        ; implicit-def: $vgpr4_vgpr5
.LBB13_130:
	s_andn2_saveexec_b64 s[0:1], s[0:1]
	s_cbranch_execz .LBB13_153
; %bb.131:
	v_cmp_lt_i64_e32 vcc, 3, v[0:1]
	s_and_saveexec_b64 s[0:1], vcc
	s_xor_b64 s[0:1], exec, s[0:1]
	s_cbranch_execz .LBB13_141
; %bb.132:
	v_cmp_lt_i64_e32 vcc, 4, v[0:1]
	s_and_saveexec_b64 s[2:3], vcc
	s_xor_b64 s[2:3], exec, s[2:3]
	s_cbranch_execz .LBB13_138
; %bb.133:
	v_cmp_lt_i64_e32 vcc, 5, v[0:1]
	s_and_saveexec_b64 s[4:5], vcc
	s_xor_b64 s[4:5], exec, s[4:5]
	s_cbranch_execz .LBB13_135
; %bb.134:
	v_mov_b32_e32 v0, 0
	global_store_dword v0, v4, s[6:7]
                                        ; implicit-def: $vgpr8_vgpr9
.LBB13_135:
	s_andn2_saveexec_b64 s[4:5], s[4:5]
	s_cbranch_execz .LBB13_137
; %bb.136:
	v_mov_b32_e32 v0, 0
	global_store_dword v0, v9, s[6:7]
.LBB13_137:
	s_or_b64 exec, exec, s[4:5]
                                        ; implicit-def: $vgpr8_vgpr9
.LBB13_138:
	s_andn2_saveexec_b64 s[2:3], s[2:3]
	s_cbranch_execz .LBB13_140
; %bb.139:
	v_mov_b32_e32 v0, 0
	global_store_dword v0, v8, s[6:7]
.LBB13_140:
	s_or_b64 exec, exec, s[2:3]
                                        ; implicit-def: $vgpr0_vgpr1
                                        ; implicit-def: $vgpr2_vgpr3
                                        ; implicit-def: $vgpr6_vgpr7
.LBB13_141:
	s_andn2_saveexec_b64 s[0:1], s[0:1]
	s_cbranch_execz .LBB13_153
; %bb.142:
	v_cmp_lt_i64_e32 vcc, 1, v[0:1]
	s_and_saveexec_b64 s[0:1], vcc
	s_xor_b64 s[0:1], exec, s[0:1]
	s_cbranch_execz .LBB13_148
; %bb.143:
	v_cmp_lt_i64_e32 vcc, 2, v[0:1]
	s_and_saveexec_b64 s[2:3], vcc
	s_xor_b64 s[2:3], exec, s[2:3]
	s_cbranch_execz .LBB13_145
; %bb.144:
	v_mov_b32_e32 v0, 0
	global_store_dword v0, v7, s[6:7]
                                        ; implicit-def: $vgpr6_vgpr7
.LBB13_145:
	s_andn2_saveexec_b64 s[2:3], s[2:3]
	s_cbranch_execz .LBB13_147
; %bb.146:
	v_mov_b32_e32 v0, 0
	global_store_dword v0, v6, s[6:7]
.LBB13_147:
	s_or_b64 exec, exec, s[2:3]
                                        ; implicit-def: $vgpr2_vgpr3
                                        ; implicit-def: $vgpr0_vgpr1
.LBB13_148:
	s_andn2_saveexec_b64 s[0:1], s[0:1]
	s_cbranch_execz .LBB13_153
; %bb.149:
	v_cmp_ne_u64_e32 vcc, 1, v[0:1]
	s_and_saveexec_b64 s[0:1], vcc
	s_xor_b64 s[0:1], exec, s[0:1]
	s_cbranch_execz .LBB13_151
; %bb.150:
	v_mov_b32_e32 v0, 0
	global_store_dword v0, v2, s[6:7]
                                        ; implicit-def: $vgpr2_vgpr3
.LBB13_151:
	s_andn2_saveexec_b64 s[0:1], s[0:1]
	s_cbranch_execz .LBB13_153
; %bb.152:
	v_mov_b32_e32 v0, 0
	global_store_dword v0, v3, s[6:7]
.LBB13_153:
	s_endpgm
	.section	.rodata,"a",@progbits
	.p2align	6, 0x0
	.amdhsa_kernel _ZN7rocprim17ROCPRIM_304000_NS6detail20lookback_scan_kernelILNS1_25lookback_scan_determinismE0ELb0ENS1_19wrapped_scan_configINS0_14default_configEiEEPKiPlSt4plusIvEiiNS1_19lookback_scan_stateIiLb0ELb1EEEEEvT2_T3_mT5_T4_T7_jPT6_SK_bb
		.amdhsa_group_segment_fixed_size 14336
		.amdhsa_private_segment_fixed_size 0
		.amdhsa_kernarg_size 68
		.amdhsa_user_sgpr_count 2
		.amdhsa_user_sgpr_dispatch_ptr 0
		.amdhsa_user_sgpr_queue_ptr 0
		.amdhsa_user_sgpr_kernarg_segment_ptr 1
		.amdhsa_user_sgpr_dispatch_id 0
		.amdhsa_user_sgpr_kernarg_preload_length 0
		.amdhsa_user_sgpr_kernarg_preload_offset 0
		.amdhsa_user_sgpr_private_segment_size 0
		.amdhsa_uses_dynamic_stack 0
		.amdhsa_enable_private_segment 0
		.amdhsa_system_sgpr_workgroup_id_x 1
		.amdhsa_system_sgpr_workgroup_id_y 0
		.amdhsa_system_sgpr_workgroup_id_z 0
		.amdhsa_system_sgpr_workgroup_info 0
		.amdhsa_system_vgpr_workitem_id 0
		.amdhsa_next_free_vgpr 50
		.amdhsa_next_free_sgpr 30
		.amdhsa_accum_offset 52
		.amdhsa_reserve_vcc 1
		.amdhsa_float_round_mode_32 0
		.amdhsa_float_round_mode_16_64 0
		.amdhsa_float_denorm_mode_32 3
		.amdhsa_float_denorm_mode_16_64 3
		.amdhsa_dx10_clamp 1
		.amdhsa_ieee_mode 1
		.amdhsa_fp16_overflow 0
		.amdhsa_tg_split 0
		.amdhsa_exception_fp_ieee_invalid_op 0
		.amdhsa_exception_fp_denorm_src 0
		.amdhsa_exception_fp_ieee_div_zero 0
		.amdhsa_exception_fp_ieee_overflow 0
		.amdhsa_exception_fp_ieee_underflow 0
		.amdhsa_exception_fp_ieee_inexact 0
		.amdhsa_exception_int_div_zero 0
	.end_amdhsa_kernel
	.section	.text._ZN7rocprim17ROCPRIM_304000_NS6detail20lookback_scan_kernelILNS1_25lookback_scan_determinismE0ELb0ENS1_19wrapped_scan_configINS0_14default_configEiEEPKiPlSt4plusIvEiiNS1_19lookback_scan_stateIiLb0ELb1EEEEEvT2_T3_mT5_T4_T7_jPT6_SK_bb,"axG",@progbits,_ZN7rocprim17ROCPRIM_304000_NS6detail20lookback_scan_kernelILNS1_25lookback_scan_determinismE0ELb0ENS1_19wrapped_scan_configINS0_14default_configEiEEPKiPlSt4plusIvEiiNS1_19lookback_scan_stateIiLb0ELb1EEEEEvT2_T3_mT5_T4_T7_jPT6_SK_bb,comdat
.Lfunc_end13:
	.size	_ZN7rocprim17ROCPRIM_304000_NS6detail20lookback_scan_kernelILNS1_25lookback_scan_determinismE0ELb0ENS1_19wrapped_scan_configINS0_14default_configEiEEPKiPlSt4plusIvEiiNS1_19lookback_scan_stateIiLb0ELb1EEEEEvT2_T3_mT5_T4_T7_jPT6_SK_bb, .Lfunc_end13-_ZN7rocprim17ROCPRIM_304000_NS6detail20lookback_scan_kernelILNS1_25lookback_scan_determinismE0ELb0ENS1_19wrapped_scan_configINS0_14default_configEiEEPKiPlSt4plusIvEiiNS1_19lookback_scan_stateIiLb0ELb1EEEEEvT2_T3_mT5_T4_T7_jPT6_SK_bb
                                        ; -- End function
	.set _ZN7rocprim17ROCPRIM_304000_NS6detail20lookback_scan_kernelILNS1_25lookback_scan_determinismE0ELb0ENS1_19wrapped_scan_configINS0_14default_configEiEEPKiPlSt4plusIvEiiNS1_19lookback_scan_stateIiLb0ELb1EEEEEvT2_T3_mT5_T4_T7_jPT6_SK_bb.num_vgpr, 50
	.set _ZN7rocprim17ROCPRIM_304000_NS6detail20lookback_scan_kernelILNS1_25lookback_scan_determinismE0ELb0ENS1_19wrapped_scan_configINS0_14default_configEiEEPKiPlSt4plusIvEiiNS1_19lookback_scan_stateIiLb0ELb1EEEEEvT2_T3_mT5_T4_T7_jPT6_SK_bb.num_agpr, 0
	.set _ZN7rocprim17ROCPRIM_304000_NS6detail20lookback_scan_kernelILNS1_25lookback_scan_determinismE0ELb0ENS1_19wrapped_scan_configINS0_14default_configEiEEPKiPlSt4plusIvEiiNS1_19lookback_scan_stateIiLb0ELb1EEEEEvT2_T3_mT5_T4_T7_jPT6_SK_bb.numbered_sgpr, 30
	.set _ZN7rocprim17ROCPRIM_304000_NS6detail20lookback_scan_kernelILNS1_25lookback_scan_determinismE0ELb0ENS1_19wrapped_scan_configINS0_14default_configEiEEPKiPlSt4plusIvEiiNS1_19lookback_scan_stateIiLb0ELb1EEEEEvT2_T3_mT5_T4_T7_jPT6_SK_bb.num_named_barrier, 0
	.set _ZN7rocprim17ROCPRIM_304000_NS6detail20lookback_scan_kernelILNS1_25lookback_scan_determinismE0ELb0ENS1_19wrapped_scan_configINS0_14default_configEiEEPKiPlSt4plusIvEiiNS1_19lookback_scan_stateIiLb0ELb1EEEEEvT2_T3_mT5_T4_T7_jPT6_SK_bb.private_seg_size, 0
	.set _ZN7rocprim17ROCPRIM_304000_NS6detail20lookback_scan_kernelILNS1_25lookback_scan_determinismE0ELb0ENS1_19wrapped_scan_configINS0_14default_configEiEEPKiPlSt4plusIvEiiNS1_19lookback_scan_stateIiLb0ELb1EEEEEvT2_T3_mT5_T4_T7_jPT6_SK_bb.uses_vcc, 1
	.set _ZN7rocprim17ROCPRIM_304000_NS6detail20lookback_scan_kernelILNS1_25lookback_scan_determinismE0ELb0ENS1_19wrapped_scan_configINS0_14default_configEiEEPKiPlSt4plusIvEiiNS1_19lookback_scan_stateIiLb0ELb1EEEEEvT2_T3_mT5_T4_T7_jPT6_SK_bb.uses_flat_scratch, 0
	.set _ZN7rocprim17ROCPRIM_304000_NS6detail20lookback_scan_kernelILNS1_25lookback_scan_determinismE0ELb0ENS1_19wrapped_scan_configINS0_14default_configEiEEPKiPlSt4plusIvEiiNS1_19lookback_scan_stateIiLb0ELb1EEEEEvT2_T3_mT5_T4_T7_jPT6_SK_bb.has_dyn_sized_stack, 0
	.set _ZN7rocprim17ROCPRIM_304000_NS6detail20lookback_scan_kernelILNS1_25lookback_scan_determinismE0ELb0ENS1_19wrapped_scan_configINS0_14default_configEiEEPKiPlSt4plusIvEiiNS1_19lookback_scan_stateIiLb0ELb1EEEEEvT2_T3_mT5_T4_T7_jPT6_SK_bb.has_recursion, 0
	.set _ZN7rocprim17ROCPRIM_304000_NS6detail20lookback_scan_kernelILNS1_25lookback_scan_determinismE0ELb0ENS1_19wrapped_scan_configINS0_14default_configEiEEPKiPlSt4plusIvEiiNS1_19lookback_scan_stateIiLb0ELb1EEEEEvT2_T3_mT5_T4_T7_jPT6_SK_bb.has_indirect_call, 0
	.section	.AMDGPU.csdata,"",@progbits
; Kernel info:
; codeLenInByte = 5492
; TotalNumSgprs: 36
; NumVgprs: 50
; NumAgprs: 0
; TotalNumVgprs: 50
; ScratchSize: 0
; MemoryBound: 0
; FloatMode: 240
; IeeeMode: 1
; LDSByteSize: 14336 bytes/workgroup (compile time only)
; SGPRBlocks: 4
; VGPRBlocks: 6
; NumSGPRsForWavesPerEU: 36
; NumVGPRsForWavesPerEU: 50
; AccumOffset: 52
; Occupancy: 8
; WaveLimiterHint : 1
; COMPUTE_PGM_RSRC2:SCRATCH_EN: 0
; COMPUTE_PGM_RSRC2:USER_SGPR: 2
; COMPUTE_PGM_RSRC2:TRAP_HANDLER: 0
; COMPUTE_PGM_RSRC2:TGID_X_EN: 1
; COMPUTE_PGM_RSRC2:TGID_Y_EN: 0
; COMPUTE_PGM_RSRC2:TGID_Z_EN: 0
; COMPUTE_PGM_RSRC2:TIDIG_COMP_CNT: 0
; COMPUTE_PGM_RSRC3_GFX90A:ACCUM_OFFSET: 12
; COMPUTE_PGM_RSRC3_GFX90A:TG_SPLIT: 0
	.section	.text._ZN7rocprim17ROCPRIM_304000_NS6detail18single_scan_kernelILb0ENS1_19wrapped_scan_configINS0_14default_configEiEEPKiPlSt4plusIvEiiEEvT1_mT4_T2_T3_,"axG",@progbits,_ZN7rocprim17ROCPRIM_304000_NS6detail18single_scan_kernelILb0ENS1_19wrapped_scan_configINS0_14default_configEiEEPKiPlSt4plusIvEiiEEvT1_mT4_T2_T3_,comdat
	.protected	_ZN7rocprim17ROCPRIM_304000_NS6detail18single_scan_kernelILb0ENS1_19wrapped_scan_configINS0_14default_configEiEEPKiPlSt4plusIvEiiEEvT1_mT4_T2_T3_ ; -- Begin function _ZN7rocprim17ROCPRIM_304000_NS6detail18single_scan_kernelILb0ENS1_19wrapped_scan_configINS0_14default_configEiEEPKiPlSt4plusIvEiiEEvT1_mT4_T2_T3_
	.globl	_ZN7rocprim17ROCPRIM_304000_NS6detail18single_scan_kernelILb0ENS1_19wrapped_scan_configINS0_14default_configEiEEPKiPlSt4plusIvEiiEEvT1_mT4_T2_T3_
	.p2align	8
	.type	_ZN7rocprim17ROCPRIM_304000_NS6detail18single_scan_kernelILb0ENS1_19wrapped_scan_configINS0_14default_configEiEEPKiPlSt4plusIvEiiEEvT1_mT4_T2_T3_,@function
_ZN7rocprim17ROCPRIM_304000_NS6detail18single_scan_kernelILb0ENS1_19wrapped_scan_configINS0_14default_configEiEEPKiPlSt4plusIvEiiEEvT1_mT4_T2_T3_: ; @_ZN7rocprim17ROCPRIM_304000_NS6detail18single_scan_kernelILb0ENS1_19wrapped_scan_configINS0_14default_configEiEEPKiPlSt4plusIvEiiEEvT1_mT4_T2_T3_
; %bb.0:
	s_load_dwordx4 s[28:31], s[0:1], 0x0
	v_mov_b32_e32 v19, 0
	v_lshlrev_b32_e32 v18, 2, v0
	s_waitcnt lgkmcnt(0)
	s_load_dword s8, s[28:29], 0x0
	v_lshl_add_u64 v[20:21], s[28:29], 0, v[18:19]
	v_cmp_gt_u32_e64 s[4:5], s30, v0
	s_waitcnt lgkmcnt(0)
	s_mov_b32 s9, s8
	s_mov_b32 s10, s8
	;; [unrolled: 1-line block ×13, first 2 shown]
	v_mov_b64_e32 v[2:3], s[8:9]
	v_mov_b64_e32 v[4:5], s[10:11]
	;; [unrolled: 1-line block ×7, first 2 shown]
	v_mov_b32_e32 v1, s8
	v_mov_b64_e32 v[16:17], s[22:23]
	s_and_saveexec_b64 s[2:3], s[4:5]
	s_cbranch_execz .LBB14_2
; %bb.1:
	global_load_dword v1, v[20:21], off
	v_mov_b32_e32 v3, s8
	v_mov_b32_e32 v4, s8
	;; [unrolled: 1-line block ×13, first 2 shown]
.LBB14_2:
	s_or_b64 exec, exec, s[2:3]
	v_or_b32_e32 v2, 0x100, v0
	v_cmp_gt_u32_e64 s[2:3], s30, v2
	s_and_saveexec_b64 s[6:7], s[2:3]
	s_cbranch_execz .LBB14_4
; %bb.3:
	global_load_dword v3, v[20:21], off offset:1024
.LBB14_4:
	s_or_b64 exec, exec, s[6:7]
	v_or_b32_e32 v2, 0x200, v0
	v_cmp_gt_u32_e64 s[6:7], s30, v2
	s_and_saveexec_b64 s[8:9], s[6:7]
	s_cbranch_execz .LBB14_6
; %bb.5:
	global_load_dword v4, v[20:21], off offset:2048
.LBB14_6:
	;; [unrolled: 8-line block ×3, first 2 shown]
	s_or_b64 exec, exec, s[10:11]
	v_or_b32_e32 v2, 0x400, v0
	v_cmp_gt_u32_e64 s[10:11], s30, v2
	s_and_saveexec_b64 s[12:13], s[10:11]
	s_cbranch_execz .LBB14_10
; %bb.9:
	v_add_co_u32_e32 v16, vcc, 0x1000, v20
	s_nop 1
	v_addc_co_u32_e32 v17, vcc, 0, v21, vcc
	global_load_dword v6, v[16:17], off
.LBB14_10:
	s_or_b64 exec, exec, s[12:13]
	v_or_b32_e32 v2, 0x500, v0
	v_cmp_gt_u32_e64 s[12:13], s30, v2
	s_and_saveexec_b64 s[14:15], s[12:13]
	s_cbranch_execz .LBB14_12
; %bb.11:
	v_add_co_u32_e32 v16, vcc, 0x1000, v20
	s_nop 1
	v_addc_co_u32_e32 v17, vcc, 0, v21, vcc
	global_load_dword v7, v[16:17], off offset:1024
.LBB14_12:
	s_or_b64 exec, exec, s[14:15]
	v_or_b32_e32 v2, 0x600, v0
	v_cmp_gt_u32_e64 s[14:15], s30, v2
	s_and_saveexec_b64 s[16:17], s[14:15]
	s_cbranch_execz .LBB14_14
; %bb.13:
	v_add_co_u32_e32 v16, vcc, 0x1000, v20
	s_nop 1
	v_addc_co_u32_e32 v17, vcc, 0, v21, vcc
	global_load_dword v8, v[16:17], off offset:2048
.LBB14_14:
	;; [unrolled: 11-line block ×3, first 2 shown]
	s_or_b64 exec, exec, s[18:19]
	v_or_b32_e32 v2, 0x800, v0
	v_cmp_gt_u32_e64 s[18:19], s30, v2
	s_and_saveexec_b64 s[20:21], s[18:19]
	s_cbranch_execz .LBB14_18
; %bb.17:
	v_add_co_u32_e32 v16, vcc, 0x2000, v20
	s_nop 1
	v_addc_co_u32_e32 v17, vcc, 0, v21, vcc
	global_load_dword v10, v[16:17], off
.LBB14_18:
	s_or_b64 exec, exec, s[20:21]
	v_or_b32_e32 v2, 0x900, v0
	v_cmp_gt_u32_e64 s[20:21], s30, v2
	s_and_saveexec_b64 s[22:23], s[20:21]
	s_cbranch_execz .LBB14_20
; %bb.19:
	v_add_co_u32_e32 v16, vcc, 0x2000, v20
	s_nop 1
	v_addc_co_u32_e32 v17, vcc, 0, v21, vcc
	global_load_dword v11, v[16:17], off offset:1024
.LBB14_20:
	s_or_b64 exec, exec, s[22:23]
	v_or_b32_e32 v2, 0xa00, v0
	v_cmp_gt_u32_e64 s[22:23], s30, v2
	s_and_saveexec_b64 s[24:25], s[22:23]
	s_cbranch_execz .LBB14_22
; %bb.21:
	v_add_co_u32_e32 v16, vcc, 0x2000, v20
	s_nop 1
	v_addc_co_u32_e32 v17, vcc, 0, v21, vcc
	global_load_dword v12, v[16:17], off offset:2048
.LBB14_22:
	;; [unrolled: 11-line block ×3, first 2 shown]
	s_or_b64 exec, exec, s[26:27]
	v_or_b32_e32 v2, 0xc00, v0
	v_cmp_gt_u32_e64 s[26:27], s30, v2
	s_and_saveexec_b64 s[28:29], s[26:27]
	s_cbranch_execz .LBB14_26
; %bb.25:
	v_add_co_u32_e32 v16, vcc, 0x3000, v20
	s_nop 1
	v_addc_co_u32_e32 v17, vcc, 0, v21, vcc
	global_load_dword v14, v[16:17], off
.LBB14_26:
	s_or_b64 exec, exec, s[28:29]
	v_or_b32_e32 v2, 0xd00, v0
	v_cmp_gt_u32_e64 s[28:29], s30, v2
	s_and_saveexec_b64 s[30:31], s[28:29]
	s_cbranch_execz .LBB14_28
; %bb.27:
	v_add_co_u32_e32 v16, vcc, 0x3000, v20
	s_nop 1
	v_addc_co_u32_e32 v17, vcc, 0, v21, vcc
	global_load_dword v15, v[16:17], off offset:1024
.LBB14_28:
	s_or_b64 exec, exec, s[30:31]
	s_waitcnt vmcnt(0)
	ds_write2st64_b32 v18, v1, v3 offset1:4
	ds_write2st64_b32 v18, v4, v5 offset0:8 offset1:12
	ds_write2st64_b32 v18, v6, v7 offset0:16 offset1:20
	;; [unrolled: 1-line block ×6, first 2 shown]
	v_mad_u32_u24 v1, v0, 52, v18
	s_waitcnt lgkmcnt(0)
	s_barrier
	ds_read2_b64 v[10:13], v1 offset1:1
	ds_read2_b64 v[6:9], v1 offset0:2 offset1:3
	ds_read2_b64 v[2:5], v1 offset0:4 offset1:5
	ds_read_b64 v[14:15], v1 offset:48
	s_waitcnt lgkmcnt(0)
	v_add_u32_e32 v1, v11, v10
	v_add3_u32 v1, v1, v12, v13
	v_add3_u32 v1, v1, v6, v7
	;; [unrolled: 1-line block ×6, first 2 shown]
	v_mbcnt_lo_u32_b32 v1, -1, 0
	v_mbcnt_hi_u32_b32 v1, -1, v1
	v_and_b32_e32 v17, 15, v1
	v_mov_b32_dpp v19, v16 row_shr:1 row_mask:0xf bank_mask:0xf
	v_cmp_ne_u32_e32 vcc, 0, v17
	s_barrier
	s_nop 0
	v_cndmask_b32_e32 v19, 0, v19, vcc
	v_add_u32_e32 v16, v19, v16
	v_cmp_lt_u32_e32 vcc, 1, v17
	s_nop 0
	v_mov_b32_dpp v19, v16 row_shr:2 row_mask:0xf bank_mask:0xf
	v_cndmask_b32_e32 v19, 0, v19, vcc
	v_add_u32_e32 v16, v16, v19
	v_cmp_lt_u32_e32 vcc, 3, v17
	s_nop 0
	v_mov_b32_dpp v19, v16 row_shr:4 row_mask:0xf bank_mask:0xf
	v_cndmask_b32_e32 v19, 0, v19, vcc
	v_add_u32_e32 v16, v16, v19
	v_cmp_lt_u32_e32 vcc, 7, v17
	s_nop 0
	v_mov_b32_dpp v19, v16 row_shr:8 row_mask:0xf bank_mask:0xf
	v_cndmask_b32_e32 v17, 0, v19, vcc
	v_add_u32_e32 v16, v16, v17
	v_bfe_i32 v19, v1, 4, 1
	v_cmp_lt_u32_e32 vcc, 31, v1
	v_mov_b32_dpp v17, v16 row_bcast:15 row_mask:0xf bank_mask:0xf
	v_and_b32_e32 v17, v19, v17
	v_add_u32_e32 v16, v16, v17
	v_lshrrev_b32_e32 v19, 6, v0
	s_nop 0
	v_mov_b32_dpp v17, v16 row_bcast:31 row_mask:0xf bank_mask:0xf
	v_cndmask_b32_e32 v17, 0, v17, vcc
	v_add_u32_e32 v16, v16, v17
	v_or_b32_e32 v17, 63, v0
	v_cmp_eq_u32_e32 vcc, v0, v17
	s_and_saveexec_b64 s[30:31], vcc
; %bb.29:
	v_lshlrev_b32_e32 v17, 2, v19
	ds_write_b32 v17, v16
; %bb.30:
	s_or_b64 exec, exec, s[30:31]
	v_cmp_gt_u32_e32 vcc, 4, v0
	s_waitcnt lgkmcnt(0)
	s_barrier
	s_and_saveexec_b64 s[30:31], vcc
	s_cbranch_execz .LBB14_32
; %bb.31:
	ds_read_b32 v17, v18
	v_and_b32_e32 v20, 3, v1
	v_cmp_ne_u32_e32 vcc, 0, v20
	s_waitcnt lgkmcnt(0)
	v_mov_b32_dpp v21, v17 row_shr:1 row_mask:0xf bank_mask:0xf
	v_cndmask_b32_e32 v21, 0, v21, vcc
	v_add_u32_e32 v17, v21, v17
	v_cmp_lt_u32_e32 vcc, 1, v20
	s_nop 0
	v_mov_b32_dpp v21, v17 row_shr:2 row_mask:0xf bank_mask:0xf
	v_cndmask_b32_e32 v20, 0, v21, vcc
	v_add_u32_e32 v17, v17, v20
	ds_write_b32 v18, v17
.LBB14_32:
	s_or_b64 exec, exec, s[30:31]
	v_mul_u32_u24_e32 v17, 52, v0
	v_cmp_lt_u32_e32 vcc, 63, v0
	s_waitcnt lgkmcnt(0)
	s_barrier
                                        ; implicit-def: $vgpr20
	s_and_saveexec_b64 s[30:31], vcc
	s_cbranch_execz .LBB14_34
; %bb.33:
	v_lshl_add_u32 v19, v19, 2, -4
	ds_read_b32 v20, v19
	s_waitcnt lgkmcnt(0)
	v_add_u32_e32 v16, v20, v16
.LBB14_34:
	s_or_b64 exec, exec, s[30:31]
	v_subrev_co_u32_e32 v19, vcc, 1, v1
	v_and_b32_e32 v21, 64, v1
	v_cmp_lt_i32_e64 s[30:31], v19, v21
	s_barrier
	s_nop 0
	v_cndmask_b32_e64 v1, v19, v1, s[30:31]
	v_lshlrev_b32_e32 v1, 2, v1
	ds_bpermute_b32 v1, v1, v16
	s_waitcnt lgkmcnt(0)
	s_load_dwordx2 s[0:1], s[0:1], 0x18
	v_cndmask_b32_e32 v1, v1, v20, vcc
	v_cmp_ne_u32_e32 vcc, 0, v0
	v_lshlrev_b32_e32 v0, 3, v0
	s_nop 0
	v_cndmask_b32_e32 v1, 0, v1, vcc
	v_add_u32_e32 v10, v1, v10
	v_add_u32_e32 v11, v10, v11
	v_add_u32_e32 v12, v11, v12
	v_add_u32_e32 v13, v12, v13
	v_add_u32_e32 v6, v13, v6
	v_add_u32_e32 v7, v6, v7
	v_add_u32_e32 v8, v7, v8
	v_add_u32_e32 v9, v8, v9
	v_add_u32_e32 v2, v9, v2
	v_add_u32_e32 v3, v2, v3
	v_add_u32_e32 v4, v3, v4
	v_add_u32_e32 v5, v4, v5
	v_add_u32_e32 v14, v5, v14
	v_add_u32_e32 v15, v14, v15
	v_add_u32_e32 v1, v18, v17
	ds_write2_b64 v1, v[10:11], v[12:13] offset1:1
	ds_write2_b64 v1, v[6:7], v[8:9] offset0:2 offset1:3
	ds_write2_b64 v1, v[2:3], v[4:5] offset0:4 offset1:5
	ds_write_b64 v1, v[14:15] offset:48
	s_waitcnt lgkmcnt(0)
	s_barrier
	ds_read2st64_b32 v[14:15], v18 offset0:4 offset1:8
	ds_read2st64_b32 v[12:13], v18 offset0:12 offset1:16
	;; [unrolled: 1-line block ×6, first 2 shown]
	ds_read_b32 v2, v18 offset:13312
	v_mov_b32_e32 v1, 0
	v_lshl_add_u64 v[0:1], s[0:1], 0, v[0:1]
	s_and_saveexec_b64 s[0:1], s[4:5]
	s_cbranch_execnz .LBB14_49
; %bb.35:
	s_or_b64 exec, exec, s[0:1]
	s_and_saveexec_b64 s[0:1], s[2:3]
	s_cbranch_execnz .LBB14_50
.LBB14_36:
	s_or_b64 exec, exec, s[0:1]
	s_and_saveexec_b64 s[0:1], s[6:7]
	s_cbranch_execnz .LBB14_51
.LBB14_37:
	s_or_b64 exec, exec, s[0:1]
	s_and_saveexec_b64 s[0:1], s[8:9]
	s_cbranch_execnz .LBB14_52
.LBB14_38:
	s_or_b64 exec, exec, s[0:1]
	s_and_saveexec_b64 s[0:1], s[10:11]
	s_cbranch_execnz .LBB14_53
.LBB14_39:
	s_or_b64 exec, exec, s[0:1]
	s_and_saveexec_b64 s[0:1], s[12:13]
	s_cbranch_execnz .LBB14_54
.LBB14_40:
	s_or_b64 exec, exec, s[0:1]
	s_and_saveexec_b64 s[0:1], s[14:15]
	s_cbranch_execnz .LBB14_55
.LBB14_41:
	s_or_b64 exec, exec, s[0:1]
	s_and_saveexec_b64 s[0:1], s[16:17]
	s_cbranch_execnz .LBB14_56
.LBB14_42:
	s_or_b64 exec, exec, s[0:1]
	s_and_saveexec_b64 s[0:1], s[18:19]
	s_cbranch_execnz .LBB14_57
.LBB14_43:
	s_or_b64 exec, exec, s[0:1]
	s_and_saveexec_b64 s[0:1], s[20:21]
	s_cbranch_execnz .LBB14_58
.LBB14_44:
	s_or_b64 exec, exec, s[0:1]
	s_and_saveexec_b64 s[0:1], s[22:23]
	s_cbranch_execnz .LBB14_59
.LBB14_45:
	s_or_b64 exec, exec, s[0:1]
	s_and_saveexec_b64 s[0:1], s[24:25]
	s_cbranch_execnz .LBB14_60
.LBB14_46:
	s_or_b64 exec, exec, s[0:1]
	s_and_saveexec_b64 s[0:1], s[26:27]
	s_cbranch_execnz .LBB14_61
.LBB14_47:
	s_or_b64 exec, exec, s[0:1]
	s_and_saveexec_b64 s[0:1], s[28:29]
	s_cbranch_execnz .LBB14_62
.LBB14_48:
	s_endpgm
.LBB14_49:
	ds_read_b32 v16, v18
	s_waitcnt lgkmcnt(0)
	v_ashrrev_i32_e32 v17, 31, v16
	global_store_dwordx2 v[0:1], v[16:17], off
	s_or_b64 exec, exec, s[0:1]
	s_and_saveexec_b64 s[0:1], s[2:3]
	s_cbranch_execz .LBB14_36
.LBB14_50:
	s_waitcnt lgkmcnt(6)
	v_ashrrev_i32_e32 v17, 31, v14
	v_mov_b32_e32 v16, v14
	global_store_dwordx2 v[0:1], v[16:17], off offset:2048
	s_or_b64 exec, exec, s[0:1]
	s_and_saveexec_b64 s[0:1], s[6:7]
	s_cbranch_execz .LBB14_37
.LBB14_51:
	s_waitcnt lgkmcnt(6)
	v_add_co_u32_e32 v14, vcc, 0x1000, v0
	v_ashrrev_i32_e32 v17, 31, v15
	v_mov_b32_e32 v16, v15
	v_addc_co_u32_e32 v15, vcc, 0, v1, vcc
	global_store_dwordx2 v[14:15], v[16:17], off
	s_or_b64 exec, exec, s[0:1]
	s_and_saveexec_b64 s[0:1], s[8:9]
	s_cbranch_execz .LBB14_38
.LBB14_52:
	v_add_co_u32_e32 v16, vcc, 0x1000, v0
	s_waitcnt lgkmcnt(5)
	v_ashrrev_i32_e32 v15, 31, v12
	v_mov_b32_e32 v14, v12
	v_addc_co_u32_e32 v17, vcc, 0, v1, vcc
	global_store_dwordx2 v[16:17], v[14:15], off offset:2048
	s_or_b64 exec, exec, s[0:1]
	s_and_saveexec_b64 s[0:1], s[10:11]
	s_cbranch_execz .LBB14_39
.LBB14_53:
	s_waitcnt lgkmcnt(5)
	v_add_co_u32_e32 v12, vcc, 0x2000, v0
	v_ashrrev_i32_e32 v15, 31, v13
	v_mov_b32_e32 v14, v13
	v_addc_co_u32_e32 v13, vcc, 0, v1, vcc
	global_store_dwordx2 v[12:13], v[14:15], off
	s_or_b64 exec, exec, s[0:1]
	s_and_saveexec_b64 s[0:1], s[12:13]
	s_cbranch_execz .LBB14_40
.LBB14_54:
	s_waitcnt lgkmcnt(6)
	v_add_co_u32_e32 v14, vcc, 0x2000, v0
	s_waitcnt lgkmcnt(4)
	v_ashrrev_i32_e32 v13, 31, v10
	v_mov_b32_e32 v12, v10
	v_addc_co_u32_e32 v15, vcc, 0, v1, vcc
	global_store_dwordx2 v[14:15], v[12:13], off offset:2048
	s_or_b64 exec, exec, s[0:1]
	s_and_saveexec_b64 s[0:1], s[14:15]
	s_cbranch_execz .LBB14_41
.LBB14_55:
	s_waitcnt lgkmcnt(4)
	v_add_co_u32_e32 v10, vcc, 0x3000, v0
	v_ashrrev_i32_e32 v13, 31, v11
	v_mov_b32_e32 v12, v11
	v_addc_co_u32_e32 v11, vcc, 0, v1, vcc
	global_store_dwordx2 v[10:11], v[12:13], off
	s_or_b64 exec, exec, s[0:1]
	s_and_saveexec_b64 s[0:1], s[16:17]
	s_cbranch_execz .LBB14_42
.LBB14_56:
	s_waitcnt lgkmcnt(5)
	v_add_co_u32_e32 v12, vcc, 0x3000, v0
	s_waitcnt lgkmcnt(3)
	v_ashrrev_i32_e32 v11, 31, v8
	v_mov_b32_e32 v10, v8
	v_addc_co_u32_e32 v13, vcc, 0, v1, vcc
	global_store_dwordx2 v[12:13], v[10:11], off offset:2048
	s_or_b64 exec, exec, s[0:1]
	s_and_saveexec_b64 s[0:1], s[18:19]
	s_cbranch_execz .LBB14_43
.LBB14_57:
	s_waitcnt lgkmcnt(3)
	v_add_co_u32_e32 v8, vcc, 0x4000, v0
	v_ashrrev_i32_e32 v11, 31, v9
	v_mov_b32_e32 v10, v9
	v_addc_co_u32_e32 v9, vcc, 0, v1, vcc
	global_store_dwordx2 v[8:9], v[10:11], off
	s_or_b64 exec, exec, s[0:1]
	s_and_saveexec_b64 s[0:1], s[20:21]
	s_cbranch_execz .LBB14_44
.LBB14_58:
	s_waitcnt lgkmcnt(4)
	v_add_co_u32_e32 v10, vcc, 0x4000, v0
	s_waitcnt lgkmcnt(2)
	v_ashrrev_i32_e32 v9, 31, v6
	v_mov_b32_e32 v8, v6
	v_addc_co_u32_e32 v11, vcc, 0, v1, vcc
	global_store_dwordx2 v[10:11], v[8:9], off offset:2048
	s_or_b64 exec, exec, s[0:1]
	s_and_saveexec_b64 s[0:1], s[22:23]
	s_cbranch_execz .LBB14_45
.LBB14_59:
	s_waitcnt lgkmcnt(2)
	v_add_co_u32_e32 v6, vcc, 0x5000, v0
	v_ashrrev_i32_e32 v9, 31, v7
	v_mov_b32_e32 v8, v7
	v_addc_co_u32_e32 v7, vcc, 0, v1, vcc
	global_store_dwordx2 v[6:7], v[8:9], off
	s_or_b64 exec, exec, s[0:1]
	s_and_saveexec_b64 s[0:1], s[24:25]
	s_cbranch_execz .LBB14_46
.LBB14_60:
	s_waitcnt lgkmcnt(3)
	v_add_co_u32_e32 v8, vcc, 0x5000, v0
	s_waitcnt lgkmcnt(1)
	v_ashrrev_i32_e32 v7, 31, v4
	v_mov_b32_e32 v6, v4
	v_addc_co_u32_e32 v9, vcc, 0, v1, vcc
	global_store_dwordx2 v[8:9], v[6:7], off offset:2048
	s_or_b64 exec, exec, s[0:1]
	s_and_saveexec_b64 s[0:1], s[26:27]
	s_cbranch_execz .LBB14_47
.LBB14_61:
	s_waitcnt lgkmcnt(1)
	v_add_co_u32_e32 v4, vcc, 0x6000, v0
	v_ashrrev_i32_e32 v7, 31, v5
	v_mov_b32_e32 v6, v5
	v_addc_co_u32_e32 v5, vcc, 0, v1, vcc
	global_store_dwordx2 v[4:5], v[6:7], off
	s_or_b64 exec, exec, s[0:1]
	s_and_saveexec_b64 s[0:1], s[28:29]
	s_cbranch_execz .LBB14_48
.LBB14_62:
	v_add_co_u32_e32 v0, vcc, 0x6000, v0
	s_waitcnt lgkmcnt(0)
	v_ashrrev_i32_e32 v3, 31, v2
	v_addc_co_u32_e32 v1, vcc, 0, v1, vcc
	global_store_dwordx2 v[0:1], v[2:3], off offset:2048
	s_endpgm
	.section	.rodata,"a",@progbits
	.p2align	6, 0x0
	.amdhsa_kernel _ZN7rocprim17ROCPRIM_304000_NS6detail18single_scan_kernelILb0ENS1_19wrapped_scan_configINS0_14default_configEiEEPKiPlSt4plusIvEiiEEvT1_mT4_T2_T3_
		.amdhsa_group_segment_fixed_size 14336
		.amdhsa_private_segment_fixed_size 0
		.amdhsa_kernarg_size 36
		.amdhsa_user_sgpr_count 2
		.amdhsa_user_sgpr_dispatch_ptr 0
		.amdhsa_user_sgpr_queue_ptr 0
		.amdhsa_user_sgpr_kernarg_segment_ptr 1
		.amdhsa_user_sgpr_dispatch_id 0
		.amdhsa_user_sgpr_kernarg_preload_length 0
		.amdhsa_user_sgpr_kernarg_preload_offset 0
		.amdhsa_user_sgpr_private_segment_size 0
		.amdhsa_uses_dynamic_stack 0
		.amdhsa_enable_private_segment 0
		.amdhsa_system_sgpr_workgroup_id_x 1
		.amdhsa_system_sgpr_workgroup_id_y 0
		.amdhsa_system_sgpr_workgroup_id_z 0
		.amdhsa_system_sgpr_workgroup_info 0
		.amdhsa_system_vgpr_workitem_id 0
		.amdhsa_next_free_vgpr 22
		.amdhsa_next_free_sgpr 32
		.amdhsa_accum_offset 24
		.amdhsa_reserve_vcc 1
		.amdhsa_float_round_mode_32 0
		.amdhsa_float_round_mode_16_64 0
		.amdhsa_float_denorm_mode_32 3
		.amdhsa_float_denorm_mode_16_64 3
		.amdhsa_dx10_clamp 1
		.amdhsa_ieee_mode 1
		.amdhsa_fp16_overflow 0
		.amdhsa_tg_split 0
		.amdhsa_exception_fp_ieee_invalid_op 0
		.amdhsa_exception_fp_denorm_src 0
		.amdhsa_exception_fp_ieee_div_zero 0
		.amdhsa_exception_fp_ieee_overflow 0
		.amdhsa_exception_fp_ieee_underflow 0
		.amdhsa_exception_fp_ieee_inexact 0
		.amdhsa_exception_int_div_zero 0
	.end_amdhsa_kernel
	.section	.text._ZN7rocprim17ROCPRIM_304000_NS6detail18single_scan_kernelILb0ENS1_19wrapped_scan_configINS0_14default_configEiEEPKiPlSt4plusIvEiiEEvT1_mT4_T2_T3_,"axG",@progbits,_ZN7rocprim17ROCPRIM_304000_NS6detail18single_scan_kernelILb0ENS1_19wrapped_scan_configINS0_14default_configEiEEPKiPlSt4plusIvEiiEEvT1_mT4_T2_T3_,comdat
.Lfunc_end14:
	.size	_ZN7rocprim17ROCPRIM_304000_NS6detail18single_scan_kernelILb0ENS1_19wrapped_scan_configINS0_14default_configEiEEPKiPlSt4plusIvEiiEEvT1_mT4_T2_T3_, .Lfunc_end14-_ZN7rocprim17ROCPRIM_304000_NS6detail18single_scan_kernelILb0ENS1_19wrapped_scan_configINS0_14default_configEiEEPKiPlSt4plusIvEiiEEvT1_mT4_T2_T3_
                                        ; -- End function
	.set _ZN7rocprim17ROCPRIM_304000_NS6detail18single_scan_kernelILb0ENS1_19wrapped_scan_configINS0_14default_configEiEEPKiPlSt4plusIvEiiEEvT1_mT4_T2_T3_.num_vgpr, 22
	.set _ZN7rocprim17ROCPRIM_304000_NS6detail18single_scan_kernelILb0ENS1_19wrapped_scan_configINS0_14default_configEiEEPKiPlSt4plusIvEiiEEvT1_mT4_T2_T3_.num_agpr, 0
	.set _ZN7rocprim17ROCPRIM_304000_NS6detail18single_scan_kernelILb0ENS1_19wrapped_scan_configINS0_14default_configEiEEPKiPlSt4plusIvEiiEEvT1_mT4_T2_T3_.numbered_sgpr, 32
	.set _ZN7rocprim17ROCPRIM_304000_NS6detail18single_scan_kernelILb0ENS1_19wrapped_scan_configINS0_14default_configEiEEPKiPlSt4plusIvEiiEEvT1_mT4_T2_T3_.num_named_barrier, 0
	.set _ZN7rocprim17ROCPRIM_304000_NS6detail18single_scan_kernelILb0ENS1_19wrapped_scan_configINS0_14default_configEiEEPKiPlSt4plusIvEiiEEvT1_mT4_T2_T3_.private_seg_size, 0
	.set _ZN7rocprim17ROCPRIM_304000_NS6detail18single_scan_kernelILb0ENS1_19wrapped_scan_configINS0_14default_configEiEEPKiPlSt4plusIvEiiEEvT1_mT4_T2_T3_.uses_vcc, 1
	.set _ZN7rocprim17ROCPRIM_304000_NS6detail18single_scan_kernelILb0ENS1_19wrapped_scan_configINS0_14default_configEiEEPKiPlSt4plusIvEiiEEvT1_mT4_T2_T3_.uses_flat_scratch, 0
	.set _ZN7rocprim17ROCPRIM_304000_NS6detail18single_scan_kernelILb0ENS1_19wrapped_scan_configINS0_14default_configEiEEPKiPlSt4plusIvEiiEEvT1_mT4_T2_T3_.has_dyn_sized_stack, 0
	.set _ZN7rocprim17ROCPRIM_304000_NS6detail18single_scan_kernelILb0ENS1_19wrapped_scan_configINS0_14default_configEiEEPKiPlSt4plusIvEiiEEvT1_mT4_T2_T3_.has_recursion, 0
	.set _ZN7rocprim17ROCPRIM_304000_NS6detail18single_scan_kernelILb0ENS1_19wrapped_scan_configINS0_14default_configEiEEPKiPlSt4plusIvEiiEEvT1_mT4_T2_T3_.has_indirect_call, 0
	.section	.AMDGPU.csdata,"",@progbits
; Kernel info:
; codeLenInByte = 2356
; TotalNumSgprs: 38
; NumVgprs: 22
; NumAgprs: 0
; TotalNumVgprs: 22
; ScratchSize: 0
; MemoryBound: 0
; FloatMode: 240
; IeeeMode: 1
; LDSByteSize: 14336 bytes/workgroup (compile time only)
; SGPRBlocks: 4
; VGPRBlocks: 2
; NumSGPRsForWavesPerEU: 38
; NumVGPRsForWavesPerEU: 22
; AccumOffset: 24
; Occupancy: 8
; WaveLimiterHint : 0
; COMPUTE_PGM_RSRC2:SCRATCH_EN: 0
; COMPUTE_PGM_RSRC2:USER_SGPR: 2
; COMPUTE_PGM_RSRC2:TRAP_HANDLER: 0
; COMPUTE_PGM_RSRC2:TGID_X_EN: 1
; COMPUTE_PGM_RSRC2:TGID_Y_EN: 0
; COMPUTE_PGM_RSRC2:TGID_Z_EN: 0
; COMPUTE_PGM_RSRC2:TIDIG_COMP_CNT: 0
; COMPUTE_PGM_RSRC3_GFX90A:ACCUM_OFFSET: 5
; COMPUTE_PGM_RSRC3_GFX90A:TG_SPLIT: 0
	.section	.text._ZN7rocprim17ROCPRIM_304000_NS6detail20lookback_scan_kernelILNS1_25lookback_scan_determinismE0ELb1ENS1_19wrapped_scan_configINS0_14default_configEiEEPKiPiN2at4cuda3cub12_GLOBAL__N_15SumOpIiEEiiNS1_19lookback_scan_stateIiLb1ELb1EEEEEvT2_T3_mT5_T4_T7_jPT6_SO_bb,"axG",@progbits,_ZN7rocprim17ROCPRIM_304000_NS6detail20lookback_scan_kernelILNS1_25lookback_scan_determinismE0ELb1ENS1_19wrapped_scan_configINS0_14default_configEiEEPKiPiN2at4cuda3cub12_GLOBAL__N_15SumOpIiEEiiNS1_19lookback_scan_stateIiLb1ELb1EEEEEvT2_T3_mT5_T4_T7_jPT6_SO_bb,comdat
	.globl	_ZN7rocprim17ROCPRIM_304000_NS6detail20lookback_scan_kernelILNS1_25lookback_scan_determinismE0ELb1ENS1_19wrapped_scan_configINS0_14default_configEiEEPKiPiN2at4cuda3cub12_GLOBAL__N_15SumOpIiEEiiNS1_19lookback_scan_stateIiLb1ELb1EEEEEvT2_T3_mT5_T4_T7_jPT6_SO_bb ; -- Begin function _ZN7rocprim17ROCPRIM_304000_NS6detail20lookback_scan_kernelILNS1_25lookback_scan_determinismE0ELb1ENS1_19wrapped_scan_configINS0_14default_configEiEEPKiPiN2at4cuda3cub12_GLOBAL__N_15SumOpIiEEiiNS1_19lookback_scan_stateIiLb1ELb1EEEEEvT2_T3_mT5_T4_T7_jPT6_SO_bb
	.p2align	8
	.type	_ZN7rocprim17ROCPRIM_304000_NS6detail20lookback_scan_kernelILNS1_25lookback_scan_determinismE0ELb1ENS1_19wrapped_scan_configINS0_14default_configEiEEPKiPiN2at4cuda3cub12_GLOBAL__N_15SumOpIiEEiiNS1_19lookback_scan_stateIiLb1ELb1EEEEEvT2_T3_mT5_T4_T7_jPT6_SO_bb,@function
_ZN7rocprim17ROCPRIM_304000_NS6detail20lookback_scan_kernelILNS1_25lookback_scan_determinismE0ELb1ENS1_19wrapped_scan_configINS0_14default_configEiEEPKiPiN2at4cuda3cub12_GLOBAL__N_15SumOpIiEEiiNS1_19lookback_scan_stateIiLb1ELb1EEEEEvT2_T3_mT5_T4_T7_jPT6_SO_bb: ; @_ZN7rocprim17ROCPRIM_304000_NS6detail20lookback_scan_kernelILNS1_25lookback_scan_determinismE0ELb1ENS1_19wrapped_scan_configINS0_14default_configEiEEPKiPiN2at4cuda3cub12_GLOBAL__N_15SumOpIiEEiiNS1_19lookback_scan_stateIiLb1ELb1EEEEEvT2_T3_mT5_T4_T7_jPT6_SO_bb
; %bb.0:
	s_endpgm
	.section	.rodata,"a",@progbits
	.p2align	6, 0x0
	.amdhsa_kernel _ZN7rocprim17ROCPRIM_304000_NS6detail20lookback_scan_kernelILNS1_25lookback_scan_determinismE0ELb1ENS1_19wrapped_scan_configINS0_14default_configEiEEPKiPiN2at4cuda3cub12_GLOBAL__N_15SumOpIiEEiiNS1_19lookback_scan_stateIiLb1ELb1EEEEEvT2_T3_mT5_T4_T7_jPT6_SO_bb
		.amdhsa_group_segment_fixed_size 0
		.amdhsa_private_segment_fixed_size 0
		.amdhsa_kernarg_size 68
		.amdhsa_user_sgpr_count 2
		.amdhsa_user_sgpr_dispatch_ptr 0
		.amdhsa_user_sgpr_queue_ptr 0
		.amdhsa_user_sgpr_kernarg_segment_ptr 1
		.amdhsa_user_sgpr_dispatch_id 0
		.amdhsa_user_sgpr_kernarg_preload_length 0
		.amdhsa_user_sgpr_kernarg_preload_offset 0
		.amdhsa_user_sgpr_private_segment_size 0
		.amdhsa_uses_dynamic_stack 0
		.amdhsa_enable_private_segment 0
		.amdhsa_system_sgpr_workgroup_id_x 1
		.amdhsa_system_sgpr_workgroup_id_y 0
		.amdhsa_system_sgpr_workgroup_id_z 0
		.amdhsa_system_sgpr_workgroup_info 0
		.amdhsa_system_vgpr_workitem_id 0
		.amdhsa_next_free_vgpr 1
		.amdhsa_next_free_sgpr 0
		.amdhsa_accum_offset 4
		.amdhsa_reserve_vcc 0
		.amdhsa_float_round_mode_32 0
		.amdhsa_float_round_mode_16_64 0
		.amdhsa_float_denorm_mode_32 3
		.amdhsa_float_denorm_mode_16_64 3
		.amdhsa_dx10_clamp 1
		.amdhsa_ieee_mode 1
		.amdhsa_fp16_overflow 0
		.amdhsa_tg_split 0
		.amdhsa_exception_fp_ieee_invalid_op 0
		.amdhsa_exception_fp_denorm_src 0
		.amdhsa_exception_fp_ieee_div_zero 0
		.amdhsa_exception_fp_ieee_overflow 0
		.amdhsa_exception_fp_ieee_underflow 0
		.amdhsa_exception_fp_ieee_inexact 0
		.amdhsa_exception_int_div_zero 0
	.end_amdhsa_kernel
	.section	.text._ZN7rocprim17ROCPRIM_304000_NS6detail20lookback_scan_kernelILNS1_25lookback_scan_determinismE0ELb1ENS1_19wrapped_scan_configINS0_14default_configEiEEPKiPiN2at4cuda3cub12_GLOBAL__N_15SumOpIiEEiiNS1_19lookback_scan_stateIiLb1ELb1EEEEEvT2_T3_mT5_T4_T7_jPT6_SO_bb,"axG",@progbits,_ZN7rocprim17ROCPRIM_304000_NS6detail20lookback_scan_kernelILNS1_25lookback_scan_determinismE0ELb1ENS1_19wrapped_scan_configINS0_14default_configEiEEPKiPiN2at4cuda3cub12_GLOBAL__N_15SumOpIiEEiiNS1_19lookback_scan_stateIiLb1ELb1EEEEEvT2_T3_mT5_T4_T7_jPT6_SO_bb,comdat
.Lfunc_end15:
	.size	_ZN7rocprim17ROCPRIM_304000_NS6detail20lookback_scan_kernelILNS1_25lookback_scan_determinismE0ELb1ENS1_19wrapped_scan_configINS0_14default_configEiEEPKiPiN2at4cuda3cub12_GLOBAL__N_15SumOpIiEEiiNS1_19lookback_scan_stateIiLb1ELb1EEEEEvT2_T3_mT5_T4_T7_jPT6_SO_bb, .Lfunc_end15-_ZN7rocprim17ROCPRIM_304000_NS6detail20lookback_scan_kernelILNS1_25lookback_scan_determinismE0ELb1ENS1_19wrapped_scan_configINS0_14default_configEiEEPKiPiN2at4cuda3cub12_GLOBAL__N_15SumOpIiEEiiNS1_19lookback_scan_stateIiLb1ELb1EEEEEvT2_T3_mT5_T4_T7_jPT6_SO_bb
                                        ; -- End function
	.set _ZN7rocprim17ROCPRIM_304000_NS6detail20lookback_scan_kernelILNS1_25lookback_scan_determinismE0ELb1ENS1_19wrapped_scan_configINS0_14default_configEiEEPKiPiN2at4cuda3cub12_GLOBAL__N_15SumOpIiEEiiNS1_19lookback_scan_stateIiLb1ELb1EEEEEvT2_T3_mT5_T4_T7_jPT6_SO_bb.num_vgpr, 0
	.set _ZN7rocprim17ROCPRIM_304000_NS6detail20lookback_scan_kernelILNS1_25lookback_scan_determinismE0ELb1ENS1_19wrapped_scan_configINS0_14default_configEiEEPKiPiN2at4cuda3cub12_GLOBAL__N_15SumOpIiEEiiNS1_19lookback_scan_stateIiLb1ELb1EEEEEvT2_T3_mT5_T4_T7_jPT6_SO_bb.num_agpr, 0
	.set _ZN7rocprim17ROCPRIM_304000_NS6detail20lookback_scan_kernelILNS1_25lookback_scan_determinismE0ELb1ENS1_19wrapped_scan_configINS0_14default_configEiEEPKiPiN2at4cuda3cub12_GLOBAL__N_15SumOpIiEEiiNS1_19lookback_scan_stateIiLb1ELb1EEEEEvT2_T3_mT5_T4_T7_jPT6_SO_bb.numbered_sgpr, 0
	.set _ZN7rocprim17ROCPRIM_304000_NS6detail20lookback_scan_kernelILNS1_25lookback_scan_determinismE0ELb1ENS1_19wrapped_scan_configINS0_14default_configEiEEPKiPiN2at4cuda3cub12_GLOBAL__N_15SumOpIiEEiiNS1_19lookback_scan_stateIiLb1ELb1EEEEEvT2_T3_mT5_T4_T7_jPT6_SO_bb.num_named_barrier, 0
	.set _ZN7rocprim17ROCPRIM_304000_NS6detail20lookback_scan_kernelILNS1_25lookback_scan_determinismE0ELb1ENS1_19wrapped_scan_configINS0_14default_configEiEEPKiPiN2at4cuda3cub12_GLOBAL__N_15SumOpIiEEiiNS1_19lookback_scan_stateIiLb1ELb1EEEEEvT2_T3_mT5_T4_T7_jPT6_SO_bb.private_seg_size, 0
	.set _ZN7rocprim17ROCPRIM_304000_NS6detail20lookback_scan_kernelILNS1_25lookback_scan_determinismE0ELb1ENS1_19wrapped_scan_configINS0_14default_configEiEEPKiPiN2at4cuda3cub12_GLOBAL__N_15SumOpIiEEiiNS1_19lookback_scan_stateIiLb1ELb1EEEEEvT2_T3_mT5_T4_T7_jPT6_SO_bb.uses_vcc, 0
	.set _ZN7rocprim17ROCPRIM_304000_NS6detail20lookback_scan_kernelILNS1_25lookback_scan_determinismE0ELb1ENS1_19wrapped_scan_configINS0_14default_configEiEEPKiPiN2at4cuda3cub12_GLOBAL__N_15SumOpIiEEiiNS1_19lookback_scan_stateIiLb1ELb1EEEEEvT2_T3_mT5_T4_T7_jPT6_SO_bb.uses_flat_scratch, 0
	.set _ZN7rocprim17ROCPRIM_304000_NS6detail20lookback_scan_kernelILNS1_25lookback_scan_determinismE0ELb1ENS1_19wrapped_scan_configINS0_14default_configEiEEPKiPiN2at4cuda3cub12_GLOBAL__N_15SumOpIiEEiiNS1_19lookback_scan_stateIiLb1ELb1EEEEEvT2_T3_mT5_T4_T7_jPT6_SO_bb.has_dyn_sized_stack, 0
	.set _ZN7rocprim17ROCPRIM_304000_NS6detail20lookback_scan_kernelILNS1_25lookback_scan_determinismE0ELb1ENS1_19wrapped_scan_configINS0_14default_configEiEEPKiPiN2at4cuda3cub12_GLOBAL__N_15SumOpIiEEiiNS1_19lookback_scan_stateIiLb1ELb1EEEEEvT2_T3_mT5_T4_T7_jPT6_SO_bb.has_recursion, 0
	.set _ZN7rocprim17ROCPRIM_304000_NS6detail20lookback_scan_kernelILNS1_25lookback_scan_determinismE0ELb1ENS1_19wrapped_scan_configINS0_14default_configEiEEPKiPiN2at4cuda3cub12_GLOBAL__N_15SumOpIiEEiiNS1_19lookback_scan_stateIiLb1ELb1EEEEEvT2_T3_mT5_T4_T7_jPT6_SO_bb.has_indirect_call, 0
	.section	.AMDGPU.csdata,"",@progbits
; Kernel info:
; codeLenInByte = 4
; TotalNumSgprs: 6
; NumVgprs: 0
; NumAgprs: 0
; TotalNumVgprs: 0
; ScratchSize: 0
; MemoryBound: 0
; FloatMode: 240
; IeeeMode: 1
; LDSByteSize: 0 bytes/workgroup (compile time only)
; SGPRBlocks: 0
; VGPRBlocks: 0
; NumSGPRsForWavesPerEU: 6
; NumVGPRsForWavesPerEU: 1
; AccumOffset: 4
; Occupancy: 8
; WaveLimiterHint : 0
; COMPUTE_PGM_RSRC2:SCRATCH_EN: 0
; COMPUTE_PGM_RSRC2:USER_SGPR: 2
; COMPUTE_PGM_RSRC2:TRAP_HANDLER: 0
; COMPUTE_PGM_RSRC2:TGID_X_EN: 1
; COMPUTE_PGM_RSRC2:TGID_Y_EN: 0
; COMPUTE_PGM_RSRC2:TGID_Z_EN: 0
; COMPUTE_PGM_RSRC2:TIDIG_COMP_CNT: 0
; COMPUTE_PGM_RSRC3_GFX90A:ACCUM_OFFSET: 0
; COMPUTE_PGM_RSRC3_GFX90A:TG_SPLIT: 0
	.section	.text._ZN7rocprim17ROCPRIM_304000_NS6detail20lookback_scan_kernelILNS1_25lookback_scan_determinismE0ELb1ENS1_19wrapped_scan_configINS0_14default_configEiEEPKiPiN2at4cuda3cub12_GLOBAL__N_15SumOpIiEEiiNS1_19lookback_scan_stateIiLb0ELb1EEEEEvT2_T3_mT5_T4_T7_jPT6_SO_bb,"axG",@progbits,_ZN7rocprim17ROCPRIM_304000_NS6detail20lookback_scan_kernelILNS1_25lookback_scan_determinismE0ELb1ENS1_19wrapped_scan_configINS0_14default_configEiEEPKiPiN2at4cuda3cub12_GLOBAL__N_15SumOpIiEEiiNS1_19lookback_scan_stateIiLb0ELb1EEEEEvT2_T3_mT5_T4_T7_jPT6_SO_bb,comdat
	.globl	_ZN7rocprim17ROCPRIM_304000_NS6detail20lookback_scan_kernelILNS1_25lookback_scan_determinismE0ELb1ENS1_19wrapped_scan_configINS0_14default_configEiEEPKiPiN2at4cuda3cub12_GLOBAL__N_15SumOpIiEEiiNS1_19lookback_scan_stateIiLb0ELb1EEEEEvT2_T3_mT5_T4_T7_jPT6_SO_bb ; -- Begin function _ZN7rocprim17ROCPRIM_304000_NS6detail20lookback_scan_kernelILNS1_25lookback_scan_determinismE0ELb1ENS1_19wrapped_scan_configINS0_14default_configEiEEPKiPiN2at4cuda3cub12_GLOBAL__N_15SumOpIiEEiiNS1_19lookback_scan_stateIiLb0ELb1EEEEEvT2_T3_mT5_T4_T7_jPT6_SO_bb
	.p2align	8
	.type	_ZN7rocprim17ROCPRIM_304000_NS6detail20lookback_scan_kernelILNS1_25lookback_scan_determinismE0ELb1ENS1_19wrapped_scan_configINS0_14default_configEiEEPKiPiN2at4cuda3cub12_GLOBAL__N_15SumOpIiEEiiNS1_19lookback_scan_stateIiLb0ELb1EEEEEvT2_T3_mT5_T4_T7_jPT6_SO_bb,@function
_ZN7rocprim17ROCPRIM_304000_NS6detail20lookback_scan_kernelILNS1_25lookback_scan_determinismE0ELb1ENS1_19wrapped_scan_configINS0_14default_configEiEEPKiPiN2at4cuda3cub12_GLOBAL__N_15SumOpIiEEiiNS1_19lookback_scan_stateIiLb0ELb1EEEEEvT2_T3_mT5_T4_T7_jPT6_SO_bb: ; @_ZN7rocprim17ROCPRIM_304000_NS6detail20lookback_scan_kernelILNS1_25lookback_scan_determinismE0ELb1ENS1_19wrapped_scan_configINS0_14default_configEiEEPKiPiN2at4cuda3cub12_GLOBAL__N_15SumOpIiEEiiNS1_19lookback_scan_stateIiLb0ELb1EEEEEvT2_T3_mT5_T4_T7_jPT6_SO_bb
; %bb.0:
	s_load_dword s3, s[0:1], 0x28
	s_load_dwordx4 s[24:27], s[0:1], 0x0
	s_load_dwordx2 s[4:5], s[0:1], 0x10
	s_mul_i32 s6, s2, 0xe00
	s_mov_b32 s7, 0
	s_waitcnt lgkmcnt(0)
	s_add_i32 s3, s3, -1
	s_mul_i32 s8, s3, 0xe00
	s_sub_u32 s30, s4, s8
	s_subb_u32 s31, s5, 0
	s_cmp_lg_u32 s2, s3
	s_cselect_b64 s[22:23], -1, 0
	s_lshl_b64 s[28:29], s[6:7], 2
	s_add_u32 s6, s24, s28
	s_addc_u32 s7, s25, s29
	s_mov_b64 s[4:5], -1
	s_and_b64 vcc, exec, s[22:23]
	v_lshlrev_b32_e32 v30, 2, v0
	s_cbranch_vccz .LBB16_2
; %bb.1:
	v_mov_b32_e32 v31, 0
	v_lshl_add_u64 v[2:3], s[6:7], 0, v[30:31]
	v_add_co_u32_e32 v4, vcc, 0x1000, v2
	global_load_dword v1, v30, s[6:7]
	global_load_dword v8, v30, s[6:7] offset:1024
	global_load_dword v9, v30, s[6:7] offset:2048
	;; [unrolled: 1-line block ×3, first 2 shown]
	v_addc_co_u32_e32 v5, vcc, 0, v3, vcc
	v_add_co_u32_e32 v6, vcc, 0x2000, v2
	s_mov_b64 s[4:5], 0
	s_nop 0
	v_addc_co_u32_e32 v7, vcc, 0, v3, vcc
	v_add_co_u32_e32 v2, vcc, 0x3000, v2
	global_load_dword v11, v[4:5], off
	global_load_dword v12, v[4:5], off offset:1024
	global_load_dword v13, v[4:5], off offset:2048
	;; [unrolled: 1-line block ×3, first 2 shown]
	global_load_dword v15, v[6:7], off
	global_load_dword v16, v[6:7], off offset:1024
	global_load_dword v17, v[6:7], off offset:2048
	;; [unrolled: 1-line block ×3, first 2 shown]
	v_addc_co_u32_e32 v3, vcc, 0, v3, vcc
	global_load_dword v4, v[2:3], off
	global_load_dword v5, v[2:3], off offset:1024
	s_waitcnt vmcnt(12)
	ds_write2st64_b32 v30, v1, v8 offset1:4
	s_waitcnt vmcnt(10)
	ds_write2st64_b32 v30, v9, v10 offset0:8 offset1:12
	s_waitcnt vmcnt(8)
	ds_write2st64_b32 v30, v11, v12 offset0:16 offset1:20
	;; [unrolled: 2-line block ×6, first 2 shown]
	s_waitcnt lgkmcnt(0)
	s_barrier
.LBB16_2:
	s_andn2_b64 vcc, exec, s[4:5]
	v_cmp_gt_u32_e64 s[4:5], s30, v0
	s_cbranch_vccnz .LBB16_32
; %bb.3:
	s_load_dword s8, s[6:7], 0x0
	v_mov_b32_e32 v31, 0
	v_lshl_add_u64 v[18:19], s[6:7], 0, v[30:31]
	s_waitcnt lgkmcnt(0)
	s_mov_b32 s9, s8
	s_mov_b32 s10, s8
	;; [unrolled: 1-line block ×13, first 2 shown]
	v_mov_b64_e32 v[2:3], s[8:9]
	v_mov_b64_e32 v[4:5], s[10:11]
	;; [unrolled: 1-line block ×7, first 2 shown]
	v_mov_b32_e32 v1, s8
	v_mov_b64_e32 v[16:17], s[22:23]
	s_and_saveexec_b64 s[6:7], s[4:5]
	s_cbranch_execz .LBB16_5
; %bb.4:
	global_load_dword v1, v[18:19], off
	v_mov_b32_e32 v3, s8
	v_mov_b32_e32 v4, s8
	v_mov_b32_e32 v5, s8
	v_mov_b32_e32 v6, s8
	v_mov_b32_e32 v7, s8
	v_mov_b32_e32 v8, s8
	v_mov_b32_e32 v9, s8
	v_mov_b32_e32 v10, s8
	v_mov_b32_e32 v11, s8
	v_mov_b32_e32 v12, s8
	v_mov_b32_e32 v13, s8
	v_mov_b32_e32 v14, s8
	v_mov_b32_e32 v15, s8
.LBB16_5:
	s_or_b64 exec, exec, s[6:7]
	v_or_b32_e32 v2, 0x100, v0
	v_cmp_gt_u32_e32 vcc, s30, v2
	s_and_saveexec_b64 s[4:5], vcc
	s_cbranch_execz .LBB16_7
; %bb.6:
	global_load_dword v3, v[18:19], off offset:1024
.LBB16_7:
	s_or_b64 exec, exec, s[4:5]
	v_or_b32_e32 v2, 0x200, v0
	v_cmp_gt_u32_e32 vcc, s30, v2
	s_and_saveexec_b64 s[4:5], vcc
	s_cbranch_execz .LBB16_9
; %bb.8:
	global_load_dword v4, v[18:19], off offset:2048
.LBB16_9:
	s_or_b64 exec, exec, s[4:5]
	v_or_b32_e32 v2, 0x300, v0
	v_cmp_gt_u32_e32 vcc, s30, v2
	s_and_saveexec_b64 s[4:5], vcc
	s_cbranch_execz .LBB16_11
; %bb.10:
	global_load_dword v5, v[18:19], off offset:3072
.LBB16_11:
	s_or_b64 exec, exec, s[4:5]
	v_or_b32_e32 v2, 0x400, v0
	v_cmp_gt_u32_e32 vcc, s30, v2
	s_and_saveexec_b64 s[4:5], vcc
	s_cbranch_execz .LBB16_13
; %bb.12:
	v_add_co_u32_e32 v16, vcc, 0x1000, v18
	s_nop 1
	v_addc_co_u32_e32 v17, vcc, 0, v19, vcc
	global_load_dword v6, v[16:17], off
.LBB16_13:
	s_or_b64 exec, exec, s[4:5]
	v_or_b32_e32 v2, 0x500, v0
	v_cmp_gt_u32_e32 vcc, s30, v2
	s_and_saveexec_b64 s[4:5], vcc
	s_cbranch_execz .LBB16_15
; %bb.14:
	v_add_co_u32_e32 v16, vcc, 0x1000, v18
	s_nop 1
	v_addc_co_u32_e32 v17, vcc, 0, v19, vcc
	global_load_dword v7, v[16:17], off offset:1024
.LBB16_15:
	s_or_b64 exec, exec, s[4:5]
	v_or_b32_e32 v2, 0x600, v0
	v_cmp_gt_u32_e32 vcc, s30, v2
	s_and_saveexec_b64 s[4:5], vcc
	s_cbranch_execz .LBB16_17
; %bb.16:
	v_add_co_u32_e32 v16, vcc, 0x1000, v18
	s_nop 1
	v_addc_co_u32_e32 v17, vcc, 0, v19, vcc
	global_load_dword v8, v[16:17], off offset:2048
.LBB16_17:
	;; [unrolled: 11-line block ×3, first 2 shown]
	s_or_b64 exec, exec, s[4:5]
	v_or_b32_e32 v2, 0x800, v0
	v_cmp_gt_u32_e32 vcc, s30, v2
	s_and_saveexec_b64 s[4:5], vcc
	s_cbranch_execz .LBB16_21
; %bb.20:
	v_add_co_u32_e32 v16, vcc, 0x2000, v18
	s_nop 1
	v_addc_co_u32_e32 v17, vcc, 0, v19, vcc
	global_load_dword v10, v[16:17], off
.LBB16_21:
	s_or_b64 exec, exec, s[4:5]
	v_or_b32_e32 v2, 0x900, v0
	v_cmp_gt_u32_e32 vcc, s30, v2
	s_and_saveexec_b64 s[4:5], vcc
	s_cbranch_execz .LBB16_23
; %bb.22:
	v_add_co_u32_e32 v16, vcc, 0x2000, v18
	s_nop 1
	v_addc_co_u32_e32 v17, vcc, 0, v19, vcc
	global_load_dword v11, v[16:17], off offset:1024
.LBB16_23:
	s_or_b64 exec, exec, s[4:5]
	v_or_b32_e32 v2, 0xa00, v0
	v_cmp_gt_u32_e32 vcc, s30, v2
	s_and_saveexec_b64 s[4:5], vcc
	s_cbranch_execz .LBB16_25
; %bb.24:
	v_add_co_u32_e32 v16, vcc, 0x2000, v18
	s_nop 1
	v_addc_co_u32_e32 v17, vcc, 0, v19, vcc
	global_load_dword v12, v[16:17], off offset:2048
.LBB16_25:
	;; [unrolled: 11-line block ×3, first 2 shown]
	s_or_b64 exec, exec, s[4:5]
	v_or_b32_e32 v2, 0xc00, v0
	v_cmp_gt_u32_e32 vcc, s30, v2
	s_and_saveexec_b64 s[4:5], vcc
	s_cbranch_execz .LBB16_29
; %bb.28:
	v_add_co_u32_e32 v16, vcc, 0x3000, v18
	s_nop 1
	v_addc_co_u32_e32 v17, vcc, 0, v19, vcc
	global_load_dword v14, v[16:17], off
.LBB16_29:
	s_or_b64 exec, exec, s[4:5]
	v_or_b32_e32 v2, 0xd00, v0
	v_cmp_gt_u32_e32 vcc, s30, v2
	s_and_saveexec_b64 s[4:5], vcc
	s_cbranch_execz .LBB16_31
; %bb.30:
	v_add_co_u32_e32 v16, vcc, 0x3000, v18
	s_nop 1
	v_addc_co_u32_e32 v17, vcc, 0, v19, vcc
	global_load_dword v15, v[16:17], off offset:1024
.LBB16_31:
	s_or_b64 exec, exec, s[4:5]
	s_waitcnt vmcnt(0)
	ds_write2st64_b32 v30, v1, v3 offset1:4
	ds_write2st64_b32 v30, v4, v5 offset0:8 offset1:12
	ds_write2st64_b32 v30, v6, v7 offset0:16 offset1:20
	;; [unrolled: 1-line block ×6, first 2 shown]
	s_waitcnt lgkmcnt(0)
	s_barrier
.LBB16_32:
	s_load_dwordx2 s[8:9], s[0:1], 0x20
	v_mul_u32_u24_e32 v1, 56, v0
	s_waitcnt lgkmcnt(0)
	ds_read2_b64 v[26:29], v1 offset1:1
	ds_read2_b64 v[22:25], v1 offset0:2 offset1:3
	ds_read2_b64 v[18:21], v1 offset0:4 offset1:5
	ds_read_b64 v[32:33], v1 offset:48
	s_cmp_lg_u32 s2, 0
	s_waitcnt lgkmcnt(3)
	v_add_u32_e32 v2, v27, v26
	v_add3_u32 v36, v2, v28, v29
	v_mbcnt_lo_u32_b32 v35, -1, 0
	v_lshrrev_b32_e32 v31, 6, v0
	v_or_b32_e32 v34, 63, v0
	s_waitcnt lgkmcnt(0)
	s_barrier
	s_cbranch_scc0 .LBB16_54
; %bb.33:
	v_add3_u32 v2, v36, v22, v23
	v_add3_u32 v2, v2, v24, v25
	;; [unrolled: 1-line block ×4, first 2 shown]
	v_mbcnt_hi_u32_b32 v5, -1, v35
	v_add3_u32 v2, v2, v32, v33
	v_and_b32_e32 v3, 15, v5
	v_cmp_ne_u32_e32 vcc, 0, v3
	v_mov_b32_dpp v4, v2 row_shr:1 row_mask:0xf bank_mask:0xf
	s_nop 0
	v_cndmask_b32_e32 v4, 0, v4, vcc
	v_add_u32_e32 v2, v4, v2
	v_cmp_lt_u32_e32 vcc, 1, v3
	s_nop 0
	v_mov_b32_dpp v4, v2 row_shr:2 row_mask:0xf bank_mask:0xf
	v_cndmask_b32_e32 v4, 0, v4, vcc
	v_add_u32_e32 v2, v2, v4
	v_cmp_lt_u32_e32 vcc, 3, v3
	s_nop 0
	v_mov_b32_dpp v4, v2 row_shr:4 row_mask:0xf bank_mask:0xf
	;; [unrolled: 5-line block ×3, first 2 shown]
	v_cndmask_b32_e32 v3, 0, v4, vcc
	v_add_u32_e32 v2, v2, v3
	v_bfe_i32 v4, v5, 4, 1
	v_cmp_lt_u32_e32 vcc, 31, v5
	v_mov_b32_dpp v3, v2 row_bcast:15 row_mask:0xf bank_mask:0xf
	v_and_b32_e32 v3, v4, v3
	v_add_u32_e32 v2, v2, v3
	s_nop 1
	v_mov_b32_dpp v3, v2 row_bcast:31 row_mask:0xf bank_mask:0xf
	v_cndmask_b32_e32 v3, 0, v3, vcc
	v_add_u32_e32 v2, v2, v3
	v_cmp_eq_u32_e32 vcc, v0, v34
	s_and_saveexec_b64 s[4:5], vcc
; %bb.34:
	v_lshlrev_b32_e32 v3, 2, v31
	ds_write_b32 v3, v2
; %bb.35:
	s_or_b64 exec, exec, s[4:5]
	v_cmp_gt_u32_e32 vcc, 4, v0
	s_waitcnt lgkmcnt(0)
	s_barrier
	s_and_saveexec_b64 s[4:5], vcc
	s_cbranch_execz .LBB16_37
; %bb.36:
	ds_read_b32 v3, v30
	v_and_b32_e32 v4, 3, v5
	v_cmp_ne_u32_e32 vcc, 0, v4
	s_waitcnt lgkmcnt(0)
	v_mov_b32_dpp v6, v3 row_shr:1 row_mask:0xf bank_mask:0xf
	v_cndmask_b32_e32 v6, 0, v6, vcc
	v_add_u32_e32 v3, v6, v3
	v_cmp_lt_u32_e32 vcc, 1, v4
	s_nop 0
	v_mov_b32_dpp v6, v3 row_shr:2 row_mask:0xf bank_mask:0xf
	v_cndmask_b32_e32 v4, 0, v6, vcc
	v_add_u32_e32 v3, v3, v4
	ds_write_b32 v30, v3
.LBB16_37:
	s_or_b64 exec, exec, s[4:5]
	v_cmp_gt_u32_e32 vcc, 64, v0
	v_cmp_lt_u32_e64 s[4:5], 63, v0
	s_waitcnt lgkmcnt(0)
	s_barrier
                                        ; implicit-def: $vgpr12
	s_and_saveexec_b64 s[6:7], s[4:5]
	s_cbranch_execz .LBB16_39
; %bb.38:
	v_lshl_add_u32 v3, v31, 2, -4
	ds_read_b32 v12, v3
	s_waitcnt lgkmcnt(0)
	v_add_u32_e32 v2, v12, v2
.LBB16_39:
	s_or_b64 exec, exec, s[6:7]
	v_subrev_co_u32_e64 v3, s[4:5], 1, v5
	v_and_b32_e32 v4, 64, v5
	v_cmp_lt_i32_e64 s[6:7], v3, v4
	s_nop 1
	v_cndmask_b32_e64 v3, v3, v5, s[6:7]
	v_lshlrev_b32_e32 v3, 2, v3
	ds_bpermute_b32 v13, v3, v2
	s_and_saveexec_b64 s[6:7], vcc
	s_cbranch_execz .LBB16_59
; %bb.40:
	v_mov_b32_e32 v9, 0
	ds_read_b32 v2, v9 offset:12
	s_and_saveexec_b64 s[10:11], s[4:5]
	s_cbranch_execz .LBB16_42
; %bb.41:
	s_add_i32 s12, s2, 64
	s_mov_b32 s13, 0
	s_lshl_b64 s[12:13], s[12:13], 3
	s_add_u32 s12, s8, s12
	v_mov_b32_e32 v3, 1
	s_addc_u32 s13, s9, s13
	s_waitcnt lgkmcnt(0)
	global_store_dwordx2 v9, v[2:3], s[12:13] sc1
.LBB16_42:
	s_or_b64 exec, exec, s[10:11]
	v_xad_u32 v4, v5, -1, s2
	v_add_u32_e32 v8, 64, v4
	v_lshl_add_u64 v[10:11], v[8:9], 3, s[8:9]
	global_load_dwordx2 v[6:7], v[10:11], off sc1
	s_waitcnt vmcnt(0)
	v_cmp_eq_u16_sdwa s[12:13], v7, v9 src0_sel:BYTE_0 src1_sel:DWORD
	s_and_saveexec_b64 s[10:11], s[12:13]
	s_cbranch_execz .LBB16_46
; %bb.43:
	s_mov_b64 s[12:13], 0
	v_mov_b32_e32 v3, 0
.LBB16_44:                              ; =>This Inner Loop Header: Depth=1
	global_load_dwordx2 v[6:7], v[10:11], off sc1
	s_waitcnt vmcnt(0)
	v_cmp_ne_u16_sdwa s[14:15], v7, v3 src0_sel:BYTE_0 src1_sel:DWORD
	s_or_b64 s[12:13], s[14:15], s[12:13]
	s_andn2_b64 exec, exec, s[12:13]
	s_cbranch_execnz .LBB16_44
; %bb.45:
	s_or_b64 exec, exec, s[12:13]
.LBB16_46:
	s_or_b64 exec, exec, s[10:11]
	v_and_b32_e32 v38, 63, v5
	v_mov_b32_e32 v3, 2
	v_cmp_ne_u32_e32 vcc, 63, v38
	v_cmp_eq_u16_sdwa s[10:11], v7, v3 src0_sel:BYTE_0 src1_sel:DWORD
	v_lshlrev_b64 v[8:9], v5, -1
	v_addc_co_u32_e32 v14, vcc, 0, v5, vcc
	v_and_b32_e32 v10, s11, v9
	v_lshlrev_b32_e32 v14, 2, v14
	v_or_b32_e32 v10, 0x80000000, v10
	ds_bpermute_b32 v16, v14, v6
	v_and_b32_e32 v11, s10, v8
	v_ffbl_b32_e32 v10, v10
	v_add_u32_e32 v10, 32, v10
	v_ffbl_b32_e32 v11, v11
	v_min_u32_e32 v10, v11, v10
	v_add_u32_e32 v15, 1, v5
	v_cmp_le_u32_e32 vcc, v15, v10
	v_add_u32_e32 v17, 2, v5
	v_add_u32_e32 v39, 4, v5
	s_waitcnt lgkmcnt(0)
	v_cndmask_b32_e32 v11, 0, v16, vcc
	v_cmp_gt_u32_e32 vcc, 62, v38
	v_add_u32_e32 v6, v11, v6
	v_add_u32_e32 v41, 8, v5
	v_cndmask_b32_e64 v11, 0, 2, vcc
	v_add_lshl_u32 v16, v11, v5, 2
	ds_bpermute_b32 v11, v16, v6
	v_cmp_le_u32_e32 vcc, v17, v10
	v_add_u32_e32 v43, 16, v5
	v_add_u32_e32 v45, 32, v5
	s_waitcnt lgkmcnt(0)
	v_cndmask_b32_e32 v11, 0, v11, vcc
	v_cmp_gt_u32_e32 vcc, 60, v38
	v_add_u32_e32 v6, v6, v11
	s_nop 0
	v_cndmask_b32_e64 v11, 0, 4, vcc
	v_add_lshl_u32 v37, v11, v5, 2
	ds_bpermute_b32 v11, v37, v6
	v_cmp_le_u32_e32 vcc, v39, v10
	s_waitcnt lgkmcnt(0)
	s_nop 0
	v_cndmask_b32_e32 v11, 0, v11, vcc
	v_cmp_gt_u32_e32 vcc, 56, v38
	v_add_u32_e32 v6, v6, v11
	s_nop 0
	v_cndmask_b32_e64 v11, 0, 8, vcc
	v_add_lshl_u32 v40, v11, v5, 2
	ds_bpermute_b32 v11, v40, v6
	v_cmp_le_u32_e32 vcc, v41, v10
	s_waitcnt lgkmcnt(0)
	s_nop 0
	;; [unrolled: 10-line block ×3, first 2 shown]
	v_cndmask_b32_e32 v11, 0, v11, vcc
	v_add_u32_e32 v6, v6, v11
	v_mov_b32_e32 v11, 0x80
	v_lshl_or_b32 v44, v5, 2, v11
	ds_bpermute_b32 v11, v44, v6
	v_cmp_le_u32_e32 vcc, v45, v10
	s_waitcnt lgkmcnt(0)
	s_nop 0
	v_cndmask_b32_e32 v5, 0, v11, vcc
	v_add_u32_e32 v6, v6, v5
	v_mov_b32_e32 v5, 0
	s_branch .LBB16_50
.LBB16_47:                              ;   in Loop: Header=BB16_50 Depth=1
	s_or_b64 exec, exec, s[12:13]
.LBB16_48:                              ;   in Loop: Header=BB16_50 Depth=1
	s_or_b64 exec, exec, s[10:11]
	v_cmp_eq_u16_sdwa s[10:11], v7, v3 src0_sel:BYTE_0 src1_sel:DWORD
	ds_bpermute_b32 v46, v14, v6
	v_subrev_u32_e32 v4, 64, v4
	v_and_b32_e32 v10, s11, v9
	v_or_b32_e32 v10, 0x80000000, v10
	v_and_b32_e32 v11, s10, v8
	v_ffbl_b32_e32 v10, v10
	v_add_u32_e32 v10, 32, v10
	v_ffbl_b32_e32 v11, v11
	v_min_u32_e32 v10, v11, v10
	v_cmp_le_u32_e32 vcc, v15, v10
	s_mov_b64 s[10:11], 0
	s_waitcnt lgkmcnt(0)
	v_cndmask_b32_e32 v11, 0, v46, vcc
	v_add_u32_e32 v6, v11, v6
	ds_bpermute_b32 v11, v16, v6
	v_cmp_le_u32_e32 vcc, v17, v10
	s_waitcnt lgkmcnt(0)
	s_nop 0
	v_cndmask_b32_e32 v11, 0, v11, vcc
	v_add_u32_e32 v6, v6, v11
	ds_bpermute_b32 v11, v37, v6
	v_cmp_le_u32_e32 vcc, v39, v10
	s_waitcnt lgkmcnt(0)
	s_nop 0
	;; [unrolled: 6-line block ×5, first 2 shown]
	v_cndmask_b32_e32 v10, 0, v11, vcc
	v_add3_u32 v6, v10, v38, v6
.LBB16_49:                              ;   in Loop: Header=BB16_50 Depth=1
	s_and_b64 vcc, exec, s[10:11]
	s_cbranch_vccnz .LBB16_55
.LBB16_50:                              ; =>This Loop Header: Depth=1
                                        ;     Child Loop BB16_53 Depth 2
	v_cmp_ne_u16_sdwa s[10:11], v7, v3 src0_sel:BYTE_0 src1_sel:DWORD
	v_mov_b32_e32 v38, v6
	s_cmp_lg_u64 s[10:11], exec
	s_mov_b64 s[10:11], -1
                                        ; implicit-def: $vgpr6
                                        ; implicit-def: $vgpr7
	s_cbranch_scc1 .LBB16_49
; %bb.51:                               ;   in Loop: Header=BB16_50 Depth=1
	v_lshl_add_u64 v[10:11], v[4:5], 3, s[8:9]
	global_load_dwordx2 v[6:7], v[10:11], off sc1
	s_waitcnt vmcnt(0)
	v_cmp_eq_u16_sdwa s[12:13], v7, v5 src0_sel:BYTE_0 src1_sel:DWORD
	s_and_saveexec_b64 s[10:11], s[12:13]
	s_cbranch_execz .LBB16_48
; %bb.52:                               ;   in Loop: Header=BB16_50 Depth=1
	s_mov_b64 s[12:13], 0
.LBB16_53:                              ;   Parent Loop BB16_50 Depth=1
                                        ; =>  This Inner Loop Header: Depth=2
	global_load_dwordx2 v[6:7], v[10:11], off sc1
	s_waitcnt vmcnt(0)
	v_cmp_ne_u16_sdwa s[14:15], v7, v5 src0_sel:BYTE_0 src1_sel:DWORD
	s_or_b64 s[12:13], s[14:15], s[12:13]
	s_andn2_b64 exec, exec, s[12:13]
	s_cbranch_execnz .LBB16_53
	s_branch .LBB16_47
.LBB16_54:
                                        ; implicit-def: $vgpr2_vgpr3_vgpr4_vgpr5_vgpr6_vgpr7_vgpr8_vgpr9_vgpr10_vgpr11_vgpr12_vgpr13_vgpr14_vgpr15_vgpr16_vgpr17
	s_load_dwordx4 s[4:7], s[0:1], 0x30
	s_cbranch_execnz .LBB16_60
	s_branch .LBB16_71
.LBB16_55:
	s_and_saveexec_b64 s[10:11], s[4:5]
	s_cbranch_execz .LBB16_57
; %bb.56:
	s_add_i32 s2, s2, 64
	s_mov_b32 s3, 0
	s_lshl_b64 s[2:3], s[2:3], 3
	s_add_u32 s2, s8, s2
	v_add_u32_e32 v2, v38, v2
	v_mov_b32_e32 v3, 2
	s_addc_u32 s3, s9, s3
	v_mov_b32_e32 v4, 0
	global_store_dwordx2 v4, v[2:3], s[2:3] sc1
.LBB16_57:
	s_or_b64 exec, exec, s[10:11]
	v_cmp_eq_u32_e32 vcc, 0, v0
	s_and_b64 exec, exec, vcc
; %bb.58:
	v_mov_b32_e32 v2, 0
	ds_write_b32 v2, v38 offset:12
.LBB16_59:
	s_or_b64 exec, exec, s[6:7]
	v_mov_b32_e32 v2, 0
	s_waitcnt lgkmcnt(0)
	s_barrier
	ds_read_b32 v2, v2 offset:12
	v_cndmask_b32_e64 v3, v13, v12, s[4:5]
	v_cmp_ne_u32_e32 vcc, 0, v0
	s_nop 1
	v_cndmask_b32_e32 v3, 0, v3, vcc
	s_waitcnt lgkmcnt(0)
	v_add_u32_e32 v2, v2, v3
	v_add_u32_e32 v3, v2, v26
	;; [unrolled: 1-line block ×14, first 2 shown]
	s_load_dwordx4 s[4:7], s[0:1], 0x30
	s_branch .LBB16_71
.LBB16_60:
	s_load_dword s2, s[0:1], 0x40
	s_load_dword s3, s[0:1], 0x18
	s_waitcnt lgkmcnt(0)
	s_bitcmp0_b32 s2, 0
	v_mov_b32_e32 v16, s3
	s_cbranch_scc1 .LBB16_62
; %bb.61:
	v_mov_b32_e32 v2, 0
	global_load_dword v3, v2, s[4:5]
	global_load_dword v4, v2, s[24:25] offset:-4
	s_waitcnt vmcnt(0)
	v_add_u32_e32 v16, v4, v3
.LBB16_62:
	v_add3_u32 v2, v36, v22, v23
	v_add3_u32 v2, v2, v24, v25
	;; [unrolled: 1-line block ×5, first 2 shown]
	v_mbcnt_hi_u32_b32 v2, -1, v35
	v_and_b32_e32 v4, 15, v2
	v_mov_b32_dpp v5, v3 row_shr:1 row_mask:0xf bank_mask:0xf
	v_cmp_ne_u32_e32 vcc, 0, v4
	s_nop 1
	v_cndmask_b32_e32 v5, 0, v5, vcc
	v_add_u32_e32 v3, v5, v3
	v_cmp_lt_u32_e32 vcc, 1, v4
	s_nop 0
	v_mov_b32_dpp v5, v3 row_shr:2 row_mask:0xf bank_mask:0xf
	v_cndmask_b32_e32 v5, 0, v5, vcc
	v_add_u32_e32 v3, v3, v5
	v_cmp_lt_u32_e32 vcc, 3, v4
	s_nop 0
	v_mov_b32_dpp v5, v3 row_shr:4 row_mask:0xf bank_mask:0xf
	;; [unrolled: 5-line block ×3, first 2 shown]
	v_cndmask_b32_e32 v4, 0, v5, vcc
	v_add_u32_e32 v3, v3, v4
	v_bfe_i32 v5, v2, 4, 1
	v_cmp_lt_u32_e32 vcc, 31, v2
	v_mov_b32_dpp v4, v3 row_bcast:15 row_mask:0xf bank_mask:0xf
	v_and_b32_e32 v4, v5, v4
	v_add_u32_e32 v3, v3, v4
	s_nop 1
	v_mov_b32_dpp v4, v3 row_bcast:31 row_mask:0xf bank_mask:0xf
	v_cndmask_b32_e32 v4, 0, v4, vcc
	v_add_u32_e32 v3, v3, v4
	v_cmp_eq_u32_e32 vcc, v0, v34
	s_and_saveexec_b64 s[2:3], vcc
; %bb.63:
	v_lshlrev_b32_e32 v4, 2, v31
	ds_write_b32 v4, v3
; %bb.64:
	s_or_b64 exec, exec, s[2:3]
	v_cmp_gt_u32_e32 vcc, 4, v0
	s_waitcnt lgkmcnt(0)
	s_barrier
	s_and_saveexec_b64 s[2:3], vcc
	s_cbranch_execz .LBB16_66
; %bb.65:
	s_movk_i32 s4, 0xffcc
	v_mad_i32_i24 v4, v0, s4, v1
	ds_read_b32 v5, v4
	v_and_b32_e32 v6, 3, v2
	v_cmp_ne_u32_e32 vcc, 0, v6
	s_waitcnt lgkmcnt(0)
	v_mov_b32_dpp v7, v5 row_shr:1 row_mask:0xf bank_mask:0xf
	v_cndmask_b32_e32 v7, 0, v7, vcc
	v_add_u32_e32 v5, v7, v5
	v_cmp_lt_u32_e32 vcc, 1, v6
	s_nop 0
	v_mov_b32_dpp v7, v5 row_shr:2 row_mask:0xf bank_mask:0xf
	v_cndmask_b32_e32 v6, 0, v7, vcc
	v_add_u32_e32 v5, v5, v6
	ds_write_b32 v4, v5
.LBB16_66:
	s_or_b64 exec, exec, s[2:3]
	v_cmp_lt_u32_e32 vcc, 63, v0
	v_mov_b32_e32 v4, v16
	s_waitcnt lgkmcnt(0)
	s_barrier
	s_and_saveexec_b64 s[2:3], vcc
	s_cbranch_execz .LBB16_68
; %bb.67:
	v_lshl_add_u32 v4, v31, 2, -4
	ds_read_b32 v4, v4
	s_waitcnt lgkmcnt(0)
	v_add_u32_e32 v4, v4, v16
.LBB16_68:
	s_or_b64 exec, exec, s[2:3]
	v_subrev_co_u32_e32 v5, vcc, 1, v2
	v_and_b32_e32 v6, 64, v2
	v_cmp_lt_i32_e64 s[2:3], v5, v6
	v_add_u32_e32 v3, v4, v3
	s_nop 0
	v_cndmask_b32_e64 v2, v5, v2, s[2:3]
	v_lshlrev_b32_e32 v2, 2, v2
	ds_bpermute_b32 v2, v2, v3
	s_waitcnt lgkmcnt(0)
	v_cndmask_b32_e32 v2, v2, v4, vcc
	v_cmp_eq_u32_e32 vcc, 0, v0
	s_nop 1
	v_cndmask_b32_e32 v2, v2, v16, vcc
	v_add_u32_e32 v3, v2, v26
	v_add_u32_e32 v4, v3, v27
	;; [unrolled: 1-line block ×13, first 2 shown]
	s_and_saveexec_b64 s[2:3], vcc
	s_cbranch_execz .LBB16_70
; %bb.69:
	v_mov_b32_e32 v18, 0
	ds_read_b32 v17, v18 offset:12
	s_waitcnt lgkmcnt(0)
	v_add_u32_e32 v16, v17, v16
	v_mov_b32_e32 v17, 2
	global_store_dwordx2 v18, v[16:17], s[8:9] offset:512 sc1
.LBB16_70:
	s_or_b64 exec, exec, s[2:3]
.LBB16_71:
	s_add_u32 s2, s26, s28
	s_addc_u32 s3, s27, s29
	s_waitcnt lgkmcnt(0)
	s_mov_b64 s[4:5], -1
	s_and_b64 vcc, exec, s[22:23]
	s_barrier
	s_cbranch_vccz .LBB16_73
; %bb.72:
	v_mov_b32_e32 v31, 0
	ds_write2_b64 v1, v[2:3], v[4:5] offset1:1
	ds_write2_b64 v1, v[6:7], v[8:9] offset0:2 offset1:3
	ds_write2_b64 v1, v[10:11], v[12:13] offset0:4 offset1:5
	ds_write_b64 v1, v[14:15] offset:48
	s_waitcnt lgkmcnt(0)
	s_barrier
	ds_read2st64_b32 v[16:17], v30 offset1:4
	ds_read2st64_b32 v[18:19], v30 offset0:8 offset1:12
	ds_read2st64_b32 v[20:21], v30 offset0:16 offset1:20
	;; [unrolled: 1-line block ×6, first 2 shown]
	v_lshl_add_u64 v[32:33], s[2:3], 0, v[30:31]
	s_movk_i32 s4, 0x1000
	s_waitcnt lgkmcnt(6)
	global_store_dword v30, v16, s[2:3]
	global_store_dword v30, v17, s[2:3] offset:1024
	s_waitcnt lgkmcnt(5)
	global_store_dword v30, v18, s[2:3] offset:2048
	global_store_dword v30, v19, s[2:3] offset:3072
	v_add_co_u32_e32 v16, vcc, s4, v32
	s_movk_i32 s4, 0x2000
	s_nop 0
	v_addc_co_u32_e32 v17, vcc, 0, v33, vcc
	v_add_co_u32_e32 v18, vcc, s4, v32
	s_mov_b64 s[4:5], 0
	s_nop 0
	v_addc_co_u32_e32 v19, vcc, 0, v33, vcc
	s_waitcnt lgkmcnt(4)
	global_store_dword v[18:19], v20, off offset:-4096
	global_store_dword v[16:17], v21, off offset:1024
	s_waitcnt lgkmcnt(3)
	global_store_dword v[16:17], v22, off offset:2048
	global_store_dword v[16:17], v23, off offset:3072
	s_waitcnt lgkmcnt(2)
	global_store_dword v[18:19], v24, off
	global_store_dword v[18:19], v25, off offset:1024
	s_waitcnt lgkmcnt(1)
	global_store_dword v[18:19], v26, off offset:2048
	global_store_dword v[18:19], v27, off offset:3072
	v_add_co_u32_e32 v16, vcc, 0x3000, v32
	s_nop 1
	v_addc_co_u32_e32 v17, vcc, 0, v33, vcc
	s_waitcnt lgkmcnt(0)
	global_store_dword v[16:17], v28, off
	global_store_dword v[16:17], v29, off offset:1024
.LBB16_73:
	s_andn2_b64 vcc, exec, s[4:5]
	s_cbranch_vccnz .LBB16_153
; %bb.74:
	ds_write2_b64 v1, v[2:3], v[4:5] offset1:1
	ds_write2_b64 v1, v[6:7], v[8:9] offset0:2 offset1:3
	ds_write2_b64 v1, v[10:11], v[12:13] offset0:4 offset1:5
	ds_write_b64 v1, v[14:15] offset:48
	s_waitcnt lgkmcnt(0)
	s_barrier
	ds_read2st64_b32 v[6:7], v30 offset1:4
	ds_read2st64_b32 v[8:9], v30 offset0:8 offset1:12
	ds_read2st64_b32 v[10:11], v30 offset0:16 offset1:20
	;; [unrolled: 1-line block ×6, first 2 shown]
	v_mov_b32_e32 v31, 0
	v_lshl_add_u64 v[2:3], s[2:3], 0, v[30:31]
	v_cmp_gt_u32_e32 vcc, s30, v0
	s_and_saveexec_b64 s[2:3], vcc
	s_cbranch_execz .LBB16_76
; %bb.75:
	s_waitcnt lgkmcnt(6)
	global_store_dword v[2:3], v6, off
.LBB16_76:
	s_or_b64 exec, exec, s[2:3]
	v_or_b32_e32 v1, 0x100, v0
	v_cmp_gt_u32_e32 vcc, s30, v1
	s_and_saveexec_b64 s[2:3], vcc
	s_cbranch_execz .LBB16_78
; %bb.77:
	s_waitcnt lgkmcnt(6)
	global_store_dword v[2:3], v7, off offset:1024
.LBB16_78:
	s_or_b64 exec, exec, s[2:3]
	v_or_b32_e32 v1, 0x200, v0
	v_cmp_gt_u32_e32 vcc, s30, v1
	s_and_saveexec_b64 s[2:3], vcc
	s_cbranch_execz .LBB16_80
; %bb.79:
	s_waitcnt lgkmcnt(5)
	global_store_dword v[2:3], v8, off offset:2048
.LBB16_80:
	;; [unrolled: 9-line block ×3, first 2 shown]
	s_or_b64 exec, exec, s[2:3]
	v_or_b32_e32 v1, 0x400, v0
	v_cmp_gt_u32_e32 vcc, s30, v1
	s_and_saveexec_b64 s[2:3], vcc
	s_cbranch_execz .LBB16_84
; %bb.83:
	v_add_co_u32_e32 v18, vcc, 0x1000, v2
	s_nop 1
	v_addc_co_u32_e32 v19, vcc, 0, v3, vcc
	s_waitcnt lgkmcnt(4)
	global_store_dword v[18:19], v10, off
.LBB16_84:
	s_or_b64 exec, exec, s[2:3]
	v_or_b32_e32 v1, 0x500, v0
	v_cmp_gt_u32_e32 vcc, s30, v1
	s_and_saveexec_b64 s[2:3], vcc
	s_cbranch_execz .LBB16_86
; %bb.85:
	v_add_co_u32_e32 v18, vcc, 0x1000, v2
	s_nop 1
	v_addc_co_u32_e32 v19, vcc, 0, v3, vcc
	s_waitcnt lgkmcnt(4)
	global_store_dword v[18:19], v11, off offset:1024
.LBB16_86:
	s_or_b64 exec, exec, s[2:3]
	v_or_b32_e32 v1, 0x600, v0
	v_cmp_gt_u32_e32 vcc, s30, v1
	s_and_saveexec_b64 s[2:3], vcc
	s_cbranch_execz .LBB16_88
; %bb.87:
	v_add_co_u32_e32 v18, vcc, 0x1000, v2
	s_nop 1
	v_addc_co_u32_e32 v19, vcc, 0, v3, vcc
	s_waitcnt lgkmcnt(3)
	global_store_dword v[18:19], v4, off offset:2048
.LBB16_88:
	;; [unrolled: 12-line block ×3, first 2 shown]
	s_or_b64 exec, exec, s[2:3]
	v_or_b32_e32 v1, 0x800, v0
	v_cmp_gt_u32_e32 vcc, s30, v1
	s_and_saveexec_b64 s[2:3], vcc
	s_cbranch_execz .LBB16_92
; %bb.91:
	v_add_co_u32_e32 v18, vcc, 0x2000, v2
	s_nop 1
	v_addc_co_u32_e32 v19, vcc, 0, v3, vcc
	s_waitcnt lgkmcnt(2)
	global_store_dword v[18:19], v14, off
.LBB16_92:
	s_or_b64 exec, exec, s[2:3]
	v_or_b32_e32 v1, 0x900, v0
	v_cmp_gt_u32_e32 vcc, s30, v1
	s_and_saveexec_b64 s[2:3], vcc
	s_cbranch_execz .LBB16_94
; %bb.93:
	v_add_co_u32_e32 v18, vcc, 0x2000, v2
	s_nop 1
	v_addc_co_u32_e32 v19, vcc, 0, v3, vcc
	s_waitcnt lgkmcnt(2)
	global_store_dword v[18:19], v15, off offset:1024
.LBB16_94:
	s_or_b64 exec, exec, s[2:3]
	v_or_b32_e32 v1, 0xa00, v0
	v_cmp_gt_u32_e32 vcc, s30, v1
	s_and_saveexec_b64 s[2:3], vcc
	s_cbranch_execz .LBB16_96
; %bb.95:
	v_add_co_u32_e32 v18, vcc, 0x2000, v2
	s_nop 1
	v_addc_co_u32_e32 v19, vcc, 0, v3, vcc
	s_waitcnt lgkmcnt(1)
	global_store_dword v[18:19], v12, off offset:2048
.LBB16_96:
	;; [unrolled: 12-line block ×3, first 2 shown]
	s_or_b64 exec, exec, s[2:3]
	v_or_b32_e32 v1, 0xc00, v0
	v_cmp_gt_u32_e32 vcc, s30, v1
	s_and_saveexec_b64 s[2:3], vcc
	s_cbranch_execz .LBB16_100
; %bb.99:
	v_add_co_u32_e32 v18, vcc, 0x3000, v2
	s_nop 1
	v_addc_co_u32_e32 v19, vcc, 0, v3, vcc
	s_waitcnt lgkmcnt(0)
	global_store_dword v[18:19], v16, off
.LBB16_100:
	s_or_b64 exec, exec, s[2:3]
	v_or_b32_e32 v1, 0xd00, v0
	v_cmp_gt_u32_e32 vcc, s30, v1
	s_and_saveexec_b64 s[2:3], vcc
	s_cbranch_execz .LBB16_102
; %bb.101:
	v_add_co_u32_e32 v2, vcc, 0x3000, v2
	s_nop 1
	v_addc_co_u32_e32 v3, vcc, 0, v3, vcc
	s_waitcnt lgkmcnt(0)
	global_store_dword v[2:3], v17, off offset:1024
.LBB16_102:
	s_or_b64 exec, exec, s[2:3]
	s_load_dword s0, s[0:1], 0x40
	s_waitcnt lgkmcnt(0)
	s_bfe_u32 s0, s0, 0x10008
	s_cmp_eq_u32 s0, 0
	s_cbranch_scc1 .LBB16_153
; %bb.103:
	s_add_u32 s0, s30, -1
	s_addc_u32 s1, s31, -1
	s_lshr_b64 s[2:3], s[0:1], 1
	s_lshr_b32 s5, s1, 1
	s_mul_hi_u32 s3, s2, 0x49249249
	s_mul_i32 s4, s2, 0x49249249
	s_mul_i32 s9, s5, 0x24924925
	s_mul_hi_u32 s2, s2, 0x24924925
	s_mul_hi_u32 s8, s5, 0x24924925
	s_add_u32 s2, s9, s2
	s_addc_u32 s8, s8, 0
	s_add_u32 s2, s4, s2
	s_addc_u32 s2, s3, 0
	;; [unrolled: 2-line block ×3, first 2 shown]
	s_mul_hi_u32 s4, s5, 0x49249249
	s_mul_i32 s5, s5, 0x49249249
	s_add_u32 s2, s5, s2
	s_addc_u32 s3, s4, s3
	v_mov_b32_e32 v1, v31
	s_lshr_b64 s[2:3], s[2:3], 1
	v_cmp_eq_u64_e32 vcc, s[2:3], v[0:1]
	s_and_saveexec_b64 s[2:3], vcc
	s_cbranch_execz .LBB16_153
; %bb.104:
	v_mul_hi_u32_u24_e32 v1, 14, v0
	v_mul_u32_u24_e32 v0, 14, v0
	v_mov_b32_e32 v2, s1
	v_sub_co_u32_e32 v0, vcc, s0, v0
	s_nop 1
	v_subb_co_u32_e32 v1, vcc, v2, v1, vcc
	v_cmp_lt_i64_e32 vcc, 6, v[0:1]
	s_and_saveexec_b64 s[0:1], vcc
	s_xor_b64 s[0:1], exec, s[0:1]
	s_cbranch_execz .LBB16_130
; %bb.105:
	v_cmp_lt_i64_e32 vcc, 9, v[0:1]
	s_and_saveexec_b64 s[2:3], vcc
	s_xor_b64 s[2:3], exec, s[2:3]
	s_cbranch_execz .LBB16_119
; %bb.106:
	;; [unrolled: 5-line block ×4, first 2 shown]
	v_mov_b32_e32 v0, 0
	global_store_dword v0, v17, s[6:7]
                                        ; implicit-def: $vgpr16_vgpr17
.LBB16_109:
	s_andn2_saveexec_b64 s[8:9], s[8:9]
	s_cbranch_execz .LBB16_111
; %bb.110:
	v_mov_b32_e32 v0, 0
	global_store_dword v0, v16, s[6:7]
.LBB16_111:
	s_or_b64 exec, exec, s[8:9]
                                        ; implicit-def: $vgpr12_vgpr13
                                        ; implicit-def: $vgpr0_vgpr1
.LBB16_112:
	s_andn2_saveexec_b64 s[4:5], s[4:5]
	s_cbranch_execz .LBB16_118
; %bb.113:
	v_cmp_lt_i64_e32 vcc, 10, v[0:1]
	s_and_saveexec_b64 s[8:9], vcc
	s_xor_b64 s[8:9], exec, s[8:9]
	s_cbranch_execz .LBB16_115
; %bb.114:
	v_mov_b32_e32 v0, 0
	global_store_dword v0, v13, s[6:7]
                                        ; implicit-def: $vgpr12_vgpr13
.LBB16_115:
	s_andn2_saveexec_b64 s[8:9], s[8:9]
	s_cbranch_execz .LBB16_117
; %bb.116:
	v_mov_b32_e32 v0, 0
	global_store_dword v0, v12, s[6:7]
.LBB16_117:
	s_or_b64 exec, exec, s[8:9]
.LBB16_118:
	s_or_b64 exec, exec, s[4:5]
                                        ; implicit-def: $vgpr4_vgpr5
                                        ; implicit-def: $vgpr0_vgpr1
                                        ; implicit-def: $vgpr14_vgpr15
.LBB16_119:
	s_andn2_saveexec_b64 s[2:3], s[2:3]
	s_cbranch_execz .LBB16_129
; %bb.120:
	v_cmp_lt_i64_e32 vcc, 7, v[0:1]
	s_and_saveexec_b64 s[4:5], vcc
	s_xor_b64 s[4:5], exec, s[4:5]
	s_cbranch_execz .LBB16_126
; %bb.121:
	v_cmp_lt_i64_e32 vcc, 8, v[0:1]
	s_and_saveexec_b64 s[8:9], vcc
	s_xor_b64 s[8:9], exec, s[8:9]
	s_cbranch_execz .LBB16_123
; %bb.122:
	v_mov_b32_e32 v0, 0
	global_store_dword v0, v15, s[6:7]
                                        ; implicit-def: $vgpr14_vgpr15
.LBB16_123:
	s_andn2_saveexec_b64 s[8:9], s[8:9]
	s_cbranch_execz .LBB16_125
; %bb.124:
	v_mov_b32_e32 v0, 0
	global_store_dword v0, v14, s[6:7]
.LBB16_125:
	s_or_b64 exec, exec, s[8:9]
                                        ; implicit-def: $vgpr4_vgpr5
.LBB16_126:
	s_andn2_saveexec_b64 s[4:5], s[4:5]
	s_cbranch_execz .LBB16_128
; %bb.127:
	v_mov_b32_e32 v0, 0
	global_store_dword v0, v5, s[6:7]
.LBB16_128:
	s_or_b64 exec, exec, s[4:5]
.LBB16_129:
	s_or_b64 exec, exec, s[2:3]
                                        ; implicit-def: $vgpr0_vgpr1
                                        ; implicit-def: $vgpr10_vgpr11
                                        ; implicit-def: $vgpr6_vgpr7
                                        ; implicit-def: $vgpr8_vgpr9
                                        ; implicit-def: $vgpr4_vgpr5
.LBB16_130:
	s_andn2_saveexec_b64 s[0:1], s[0:1]
	s_cbranch_execz .LBB16_153
; %bb.131:
	v_cmp_lt_i64_e32 vcc, 3, v[0:1]
	s_and_saveexec_b64 s[0:1], vcc
	s_xor_b64 s[0:1], exec, s[0:1]
	s_cbranch_execz .LBB16_141
; %bb.132:
	v_cmp_lt_i64_e32 vcc, 4, v[0:1]
	s_and_saveexec_b64 s[2:3], vcc
	s_xor_b64 s[2:3], exec, s[2:3]
	;; [unrolled: 5-line block ×3, first 2 shown]
	s_cbranch_execz .LBB16_135
; %bb.134:
	v_mov_b32_e32 v0, 0
	global_store_dword v0, v4, s[6:7]
                                        ; implicit-def: $vgpr10_vgpr11
.LBB16_135:
	s_andn2_saveexec_b64 s[4:5], s[4:5]
	s_cbranch_execz .LBB16_137
; %bb.136:
	v_mov_b32_e32 v0, 0
	global_store_dword v0, v11, s[6:7]
.LBB16_137:
	s_or_b64 exec, exec, s[4:5]
                                        ; implicit-def: $vgpr10_vgpr11
.LBB16_138:
	s_andn2_saveexec_b64 s[2:3], s[2:3]
	s_cbranch_execz .LBB16_140
; %bb.139:
	v_mov_b32_e32 v0, 0
	global_store_dword v0, v10, s[6:7]
.LBB16_140:
	s_or_b64 exec, exec, s[2:3]
                                        ; implicit-def: $vgpr0_vgpr1
                                        ; implicit-def: $vgpr6_vgpr7
                                        ; implicit-def: $vgpr8_vgpr9
.LBB16_141:
	s_andn2_saveexec_b64 s[0:1], s[0:1]
	s_cbranch_execz .LBB16_153
; %bb.142:
	v_cmp_lt_i64_e32 vcc, 1, v[0:1]
	s_and_saveexec_b64 s[0:1], vcc
	s_xor_b64 s[0:1], exec, s[0:1]
	s_cbranch_execz .LBB16_148
; %bb.143:
	v_cmp_lt_i64_e32 vcc, 2, v[0:1]
	s_and_saveexec_b64 s[2:3], vcc
	s_xor_b64 s[2:3], exec, s[2:3]
	s_cbranch_execz .LBB16_145
; %bb.144:
	v_mov_b32_e32 v0, 0
	global_store_dword v0, v9, s[6:7]
                                        ; implicit-def: $vgpr8_vgpr9
.LBB16_145:
	s_andn2_saveexec_b64 s[2:3], s[2:3]
	s_cbranch_execz .LBB16_147
; %bb.146:
	v_mov_b32_e32 v0, 0
	global_store_dword v0, v8, s[6:7]
.LBB16_147:
	s_or_b64 exec, exec, s[2:3]
                                        ; implicit-def: $vgpr6_vgpr7
                                        ; implicit-def: $vgpr0_vgpr1
.LBB16_148:
	s_andn2_saveexec_b64 s[0:1], s[0:1]
	s_cbranch_execz .LBB16_153
; %bb.149:
	v_cmp_ne_u64_e32 vcc, 1, v[0:1]
	s_and_saveexec_b64 s[0:1], vcc
	s_xor_b64 s[0:1], exec, s[0:1]
	s_cbranch_execz .LBB16_151
; %bb.150:
	v_mov_b32_e32 v0, 0
	global_store_dword v0, v6, s[6:7]
                                        ; implicit-def: $vgpr6_vgpr7
.LBB16_151:
	s_andn2_saveexec_b64 s[0:1], s[0:1]
	s_cbranch_execz .LBB16_153
; %bb.152:
	v_mov_b32_e32 v0, 0
	global_store_dword v0, v7, s[6:7]
.LBB16_153:
	s_endpgm
	.section	.rodata,"a",@progbits
	.p2align	6, 0x0
	.amdhsa_kernel _ZN7rocprim17ROCPRIM_304000_NS6detail20lookback_scan_kernelILNS1_25lookback_scan_determinismE0ELb1ENS1_19wrapped_scan_configINS0_14default_configEiEEPKiPiN2at4cuda3cub12_GLOBAL__N_15SumOpIiEEiiNS1_19lookback_scan_stateIiLb0ELb1EEEEEvT2_T3_mT5_T4_T7_jPT6_SO_bb
		.amdhsa_group_segment_fixed_size 14336
		.amdhsa_private_segment_fixed_size 0
		.amdhsa_kernarg_size 68
		.amdhsa_user_sgpr_count 2
		.amdhsa_user_sgpr_dispatch_ptr 0
		.amdhsa_user_sgpr_queue_ptr 0
		.amdhsa_user_sgpr_kernarg_segment_ptr 1
		.amdhsa_user_sgpr_dispatch_id 0
		.amdhsa_user_sgpr_kernarg_preload_length 0
		.amdhsa_user_sgpr_kernarg_preload_offset 0
		.amdhsa_user_sgpr_private_segment_size 0
		.amdhsa_uses_dynamic_stack 0
		.amdhsa_enable_private_segment 0
		.amdhsa_system_sgpr_workgroup_id_x 1
		.amdhsa_system_sgpr_workgroup_id_y 0
		.amdhsa_system_sgpr_workgroup_id_z 0
		.amdhsa_system_sgpr_workgroup_info 0
		.amdhsa_system_vgpr_workitem_id 0
		.amdhsa_next_free_vgpr 47
		.amdhsa_next_free_sgpr 32
		.amdhsa_accum_offset 48
		.amdhsa_reserve_vcc 1
		.amdhsa_float_round_mode_32 0
		.amdhsa_float_round_mode_16_64 0
		.amdhsa_float_denorm_mode_32 3
		.amdhsa_float_denorm_mode_16_64 3
		.amdhsa_dx10_clamp 1
		.amdhsa_ieee_mode 1
		.amdhsa_fp16_overflow 0
		.amdhsa_tg_split 0
		.amdhsa_exception_fp_ieee_invalid_op 0
		.amdhsa_exception_fp_denorm_src 0
		.amdhsa_exception_fp_ieee_div_zero 0
		.amdhsa_exception_fp_ieee_overflow 0
		.amdhsa_exception_fp_ieee_underflow 0
		.amdhsa_exception_fp_ieee_inexact 0
		.amdhsa_exception_int_div_zero 0
	.end_amdhsa_kernel
	.section	.text._ZN7rocprim17ROCPRIM_304000_NS6detail20lookback_scan_kernelILNS1_25lookback_scan_determinismE0ELb1ENS1_19wrapped_scan_configINS0_14default_configEiEEPKiPiN2at4cuda3cub12_GLOBAL__N_15SumOpIiEEiiNS1_19lookback_scan_stateIiLb0ELb1EEEEEvT2_T3_mT5_T4_T7_jPT6_SO_bb,"axG",@progbits,_ZN7rocprim17ROCPRIM_304000_NS6detail20lookback_scan_kernelILNS1_25lookback_scan_determinismE0ELb1ENS1_19wrapped_scan_configINS0_14default_configEiEEPKiPiN2at4cuda3cub12_GLOBAL__N_15SumOpIiEEiiNS1_19lookback_scan_stateIiLb0ELb1EEEEEvT2_T3_mT5_T4_T7_jPT6_SO_bb,comdat
.Lfunc_end16:
	.size	_ZN7rocprim17ROCPRIM_304000_NS6detail20lookback_scan_kernelILNS1_25lookback_scan_determinismE0ELb1ENS1_19wrapped_scan_configINS0_14default_configEiEEPKiPiN2at4cuda3cub12_GLOBAL__N_15SumOpIiEEiiNS1_19lookback_scan_stateIiLb0ELb1EEEEEvT2_T3_mT5_T4_T7_jPT6_SO_bb, .Lfunc_end16-_ZN7rocprim17ROCPRIM_304000_NS6detail20lookback_scan_kernelILNS1_25lookback_scan_determinismE0ELb1ENS1_19wrapped_scan_configINS0_14default_configEiEEPKiPiN2at4cuda3cub12_GLOBAL__N_15SumOpIiEEiiNS1_19lookback_scan_stateIiLb0ELb1EEEEEvT2_T3_mT5_T4_T7_jPT6_SO_bb
                                        ; -- End function
	.set _ZN7rocprim17ROCPRIM_304000_NS6detail20lookback_scan_kernelILNS1_25lookback_scan_determinismE0ELb1ENS1_19wrapped_scan_configINS0_14default_configEiEEPKiPiN2at4cuda3cub12_GLOBAL__N_15SumOpIiEEiiNS1_19lookback_scan_stateIiLb0ELb1EEEEEvT2_T3_mT5_T4_T7_jPT6_SO_bb.num_vgpr, 47
	.set _ZN7rocprim17ROCPRIM_304000_NS6detail20lookback_scan_kernelILNS1_25lookback_scan_determinismE0ELb1ENS1_19wrapped_scan_configINS0_14default_configEiEEPKiPiN2at4cuda3cub12_GLOBAL__N_15SumOpIiEEiiNS1_19lookback_scan_stateIiLb0ELb1EEEEEvT2_T3_mT5_T4_T7_jPT6_SO_bb.num_agpr, 0
	.set _ZN7rocprim17ROCPRIM_304000_NS6detail20lookback_scan_kernelILNS1_25lookback_scan_determinismE0ELb1ENS1_19wrapped_scan_configINS0_14default_configEiEEPKiPiN2at4cuda3cub12_GLOBAL__N_15SumOpIiEEiiNS1_19lookback_scan_stateIiLb0ELb1EEEEEvT2_T3_mT5_T4_T7_jPT6_SO_bb.numbered_sgpr, 32
	.set _ZN7rocprim17ROCPRIM_304000_NS6detail20lookback_scan_kernelILNS1_25lookback_scan_determinismE0ELb1ENS1_19wrapped_scan_configINS0_14default_configEiEEPKiPiN2at4cuda3cub12_GLOBAL__N_15SumOpIiEEiiNS1_19lookback_scan_stateIiLb0ELb1EEEEEvT2_T3_mT5_T4_T7_jPT6_SO_bb.num_named_barrier, 0
	.set _ZN7rocprim17ROCPRIM_304000_NS6detail20lookback_scan_kernelILNS1_25lookback_scan_determinismE0ELb1ENS1_19wrapped_scan_configINS0_14default_configEiEEPKiPiN2at4cuda3cub12_GLOBAL__N_15SumOpIiEEiiNS1_19lookback_scan_stateIiLb0ELb1EEEEEvT2_T3_mT5_T4_T7_jPT6_SO_bb.private_seg_size, 0
	.set _ZN7rocprim17ROCPRIM_304000_NS6detail20lookback_scan_kernelILNS1_25lookback_scan_determinismE0ELb1ENS1_19wrapped_scan_configINS0_14default_configEiEEPKiPiN2at4cuda3cub12_GLOBAL__N_15SumOpIiEEiiNS1_19lookback_scan_stateIiLb0ELb1EEEEEvT2_T3_mT5_T4_T7_jPT6_SO_bb.uses_vcc, 1
	.set _ZN7rocprim17ROCPRIM_304000_NS6detail20lookback_scan_kernelILNS1_25lookback_scan_determinismE0ELb1ENS1_19wrapped_scan_configINS0_14default_configEiEEPKiPiN2at4cuda3cub12_GLOBAL__N_15SumOpIiEEiiNS1_19lookback_scan_stateIiLb0ELb1EEEEEvT2_T3_mT5_T4_T7_jPT6_SO_bb.uses_flat_scratch, 0
	.set _ZN7rocprim17ROCPRIM_304000_NS6detail20lookback_scan_kernelILNS1_25lookback_scan_determinismE0ELb1ENS1_19wrapped_scan_configINS0_14default_configEiEEPKiPiN2at4cuda3cub12_GLOBAL__N_15SumOpIiEEiiNS1_19lookback_scan_stateIiLb0ELb1EEEEEvT2_T3_mT5_T4_T7_jPT6_SO_bb.has_dyn_sized_stack, 0
	.set _ZN7rocprim17ROCPRIM_304000_NS6detail20lookback_scan_kernelILNS1_25lookback_scan_determinismE0ELb1ENS1_19wrapped_scan_configINS0_14default_configEiEEPKiPiN2at4cuda3cub12_GLOBAL__N_15SumOpIiEEiiNS1_19lookback_scan_stateIiLb0ELb1EEEEEvT2_T3_mT5_T4_T7_jPT6_SO_bb.has_recursion, 0
	.set _ZN7rocprim17ROCPRIM_304000_NS6detail20lookback_scan_kernelILNS1_25lookback_scan_determinismE0ELb1ENS1_19wrapped_scan_configINS0_14default_configEiEEPKiPiN2at4cuda3cub12_GLOBAL__N_15SumOpIiEEiiNS1_19lookback_scan_stateIiLb0ELb1EEEEEvT2_T3_mT5_T4_T7_jPT6_SO_bb.has_indirect_call, 0
	.section	.AMDGPU.csdata,"",@progbits
; Kernel info:
; codeLenInByte = 5168
; TotalNumSgprs: 38
; NumVgprs: 47
; NumAgprs: 0
; TotalNumVgprs: 47
; ScratchSize: 0
; MemoryBound: 0
; FloatMode: 240
; IeeeMode: 1
; LDSByteSize: 14336 bytes/workgroup (compile time only)
; SGPRBlocks: 4
; VGPRBlocks: 5
; NumSGPRsForWavesPerEU: 38
; NumVGPRsForWavesPerEU: 47
; AccumOffset: 48
; Occupancy: 8
; WaveLimiterHint : 1
; COMPUTE_PGM_RSRC2:SCRATCH_EN: 0
; COMPUTE_PGM_RSRC2:USER_SGPR: 2
; COMPUTE_PGM_RSRC2:TRAP_HANDLER: 0
; COMPUTE_PGM_RSRC2:TGID_X_EN: 1
; COMPUTE_PGM_RSRC2:TGID_Y_EN: 0
; COMPUTE_PGM_RSRC2:TGID_Z_EN: 0
; COMPUTE_PGM_RSRC2:TIDIG_COMP_CNT: 0
; COMPUTE_PGM_RSRC3_GFX90A:ACCUM_OFFSET: 11
; COMPUTE_PGM_RSRC3_GFX90A:TG_SPLIT: 0
	.section	.text._ZN7rocprim17ROCPRIM_304000_NS6detail18single_scan_kernelILb1ENS1_19wrapped_scan_configINS0_14default_configEiEEPKiPiN2at4cuda3cub12_GLOBAL__N_15SumOpIiEEiiEEvT1_mT4_T2_T3_,"axG",@progbits,_ZN7rocprim17ROCPRIM_304000_NS6detail18single_scan_kernelILb1ENS1_19wrapped_scan_configINS0_14default_configEiEEPKiPiN2at4cuda3cub12_GLOBAL__N_15SumOpIiEEiiEEvT1_mT4_T2_T3_,comdat
	.globl	_ZN7rocprim17ROCPRIM_304000_NS6detail18single_scan_kernelILb1ENS1_19wrapped_scan_configINS0_14default_configEiEEPKiPiN2at4cuda3cub12_GLOBAL__N_15SumOpIiEEiiEEvT1_mT4_T2_T3_ ; -- Begin function _ZN7rocprim17ROCPRIM_304000_NS6detail18single_scan_kernelILb1ENS1_19wrapped_scan_configINS0_14default_configEiEEPKiPiN2at4cuda3cub12_GLOBAL__N_15SumOpIiEEiiEEvT1_mT4_T2_T3_
	.p2align	8
	.type	_ZN7rocprim17ROCPRIM_304000_NS6detail18single_scan_kernelILb1ENS1_19wrapped_scan_configINS0_14default_configEiEEPKiPiN2at4cuda3cub12_GLOBAL__N_15SumOpIiEEiiEEvT1_mT4_T2_T3_,@function
_ZN7rocprim17ROCPRIM_304000_NS6detail18single_scan_kernelILb1ENS1_19wrapped_scan_configINS0_14default_configEiEEPKiPiN2at4cuda3cub12_GLOBAL__N_15SumOpIiEEiiEEvT1_mT4_T2_T3_: ; @_ZN7rocprim17ROCPRIM_304000_NS6detail18single_scan_kernelILb1ENS1_19wrapped_scan_configINS0_14default_configEiEEPKiPiN2at4cuda3cub12_GLOBAL__N_15SumOpIiEEiiEEvT1_mT4_T2_T3_
; %bb.0:
	s_load_dwordx4 s[28:31], s[0:1], 0x0
	v_mov_b32_e32 v19, 0
	v_lshlrev_b32_e32 v18, 2, v0
	s_waitcnt lgkmcnt(0)
	s_load_dword s4, s[28:29], 0x0
	v_lshl_add_u64 v[20:21], s[28:29], 0, v[18:19]
	v_cmp_gt_u32_e64 s[2:3], s30, v0
	s_waitcnt lgkmcnt(0)
	s_mov_b32 s5, s4
	s_mov_b32 s6, s4
	;; [unrolled: 1-line block ×13, first 2 shown]
	v_mov_b64_e32 v[2:3], s[4:5]
	v_mov_b64_e32 v[4:5], s[6:7]
	;; [unrolled: 1-line block ×7, first 2 shown]
	v_mov_b32_e32 v1, s4
	v_mov_b64_e32 v[16:17], s[18:19]
	s_and_saveexec_b64 s[6:7], s[2:3]
	s_cbranch_execz .LBB17_2
; %bb.1:
	global_load_dword v1, v[20:21], off
	v_mov_b32_e32 v3, s4
	v_mov_b32_e32 v4, s4
	;; [unrolled: 1-line block ×13, first 2 shown]
.LBB17_2:
	s_or_b64 exec, exec, s[6:7]
	v_or_b32_e32 v2, 0x100, v0
	v_cmp_gt_u32_e64 s[4:5], s30, v2
	s_and_saveexec_b64 s[6:7], s[4:5]
	s_cbranch_execz .LBB17_4
; %bb.3:
	global_load_dword v3, v[20:21], off offset:1024
.LBB17_4:
	s_or_b64 exec, exec, s[6:7]
	v_or_b32_e32 v2, 0x200, v0
	v_cmp_gt_u32_e64 s[6:7], s30, v2
	s_and_saveexec_b64 s[8:9], s[6:7]
	s_cbranch_execz .LBB17_6
; %bb.5:
	global_load_dword v4, v[20:21], off offset:2048
.LBB17_6:
	;; [unrolled: 8-line block ×3, first 2 shown]
	s_or_b64 exec, exec, s[10:11]
	v_or_b32_e32 v2, 0x400, v0
	v_cmp_gt_u32_e64 s[10:11], s30, v2
	s_and_saveexec_b64 s[12:13], s[10:11]
	s_cbranch_execz .LBB17_10
; %bb.9:
	v_add_co_u32_e32 v16, vcc, 0x1000, v20
	s_nop 1
	v_addc_co_u32_e32 v17, vcc, 0, v21, vcc
	global_load_dword v6, v[16:17], off
.LBB17_10:
	s_or_b64 exec, exec, s[12:13]
	v_or_b32_e32 v2, 0x500, v0
	v_cmp_gt_u32_e64 s[12:13], s30, v2
	s_and_saveexec_b64 s[14:15], s[12:13]
	s_cbranch_execz .LBB17_12
; %bb.11:
	v_add_co_u32_e32 v16, vcc, 0x1000, v20
	s_nop 1
	v_addc_co_u32_e32 v17, vcc, 0, v21, vcc
	global_load_dword v7, v[16:17], off offset:1024
.LBB17_12:
	s_or_b64 exec, exec, s[14:15]
	v_or_b32_e32 v2, 0x600, v0
	v_cmp_gt_u32_e64 s[14:15], s30, v2
	s_and_saveexec_b64 s[16:17], s[14:15]
	s_cbranch_execz .LBB17_14
; %bb.13:
	v_add_co_u32_e32 v16, vcc, 0x1000, v20
	s_nop 1
	v_addc_co_u32_e32 v17, vcc, 0, v21, vcc
	global_load_dword v8, v[16:17], off offset:2048
.LBB17_14:
	;; [unrolled: 11-line block ×3, first 2 shown]
	s_or_b64 exec, exec, s[18:19]
	v_or_b32_e32 v2, 0x800, v0
	v_cmp_gt_u32_e64 s[18:19], s30, v2
	s_and_saveexec_b64 s[20:21], s[18:19]
	s_cbranch_execz .LBB17_18
; %bb.17:
	v_add_co_u32_e32 v16, vcc, 0x2000, v20
	s_nop 1
	v_addc_co_u32_e32 v17, vcc, 0, v21, vcc
	global_load_dword v10, v[16:17], off
.LBB17_18:
	s_or_b64 exec, exec, s[20:21]
	v_or_b32_e32 v2, 0x900, v0
	v_cmp_gt_u32_e64 s[20:21], s30, v2
	s_and_saveexec_b64 s[22:23], s[20:21]
	s_cbranch_execz .LBB17_20
; %bb.19:
	v_add_co_u32_e32 v16, vcc, 0x2000, v20
	s_nop 1
	v_addc_co_u32_e32 v17, vcc, 0, v21, vcc
	global_load_dword v11, v[16:17], off offset:1024
.LBB17_20:
	s_or_b64 exec, exec, s[22:23]
	v_or_b32_e32 v2, 0xa00, v0
	v_cmp_gt_u32_e64 s[22:23], s30, v2
	s_and_saveexec_b64 s[24:25], s[22:23]
	s_cbranch_execz .LBB17_22
; %bb.21:
	v_add_co_u32_e32 v16, vcc, 0x2000, v20
	s_nop 1
	v_addc_co_u32_e32 v17, vcc, 0, v21, vcc
	global_load_dword v12, v[16:17], off offset:2048
.LBB17_22:
	;; [unrolled: 11-line block ×3, first 2 shown]
	s_or_b64 exec, exec, s[26:27]
	v_or_b32_e32 v2, 0xc00, v0
	v_cmp_gt_u32_e64 s[26:27], s30, v2
	s_and_saveexec_b64 s[28:29], s[26:27]
	s_cbranch_execz .LBB17_26
; %bb.25:
	v_add_co_u32_e32 v16, vcc, 0x3000, v20
	s_nop 1
	v_addc_co_u32_e32 v17, vcc, 0, v21, vcc
	global_load_dword v14, v[16:17], off
.LBB17_26:
	s_or_b64 exec, exec, s[28:29]
	v_or_b32_e32 v2, 0xd00, v0
	v_cmp_gt_u32_e64 s[28:29], s30, v2
	s_and_saveexec_b64 s[30:31], s[28:29]
	s_cbranch_execz .LBB17_28
; %bb.27:
	v_add_co_u32_e32 v16, vcc, 0x3000, v20
	s_nop 1
	v_addc_co_u32_e32 v17, vcc, 0, v21, vcc
	global_load_dword v15, v[16:17], off offset:1024
.LBB17_28:
	s_or_b64 exec, exec, s[30:31]
	s_waitcnt vmcnt(0)
	ds_write2st64_b32 v18, v1, v3 offset1:4
	ds_write2st64_b32 v18, v4, v5 offset0:8 offset1:12
	ds_write2st64_b32 v18, v6, v7 offset0:16 offset1:20
	;; [unrolled: 1-line block ×6, first 2 shown]
	v_mad_u32_u24 v1, v0, 52, v18
	s_waitcnt lgkmcnt(0)
	s_barrier
	ds_read2_b64 v[10:13], v1 offset1:1
	ds_read2_b64 v[6:9], v1 offset0:2 offset1:3
	ds_read2_b64 v[2:5], v1 offset0:4 offset1:5
	ds_read_b64 v[14:15], v1 offset:48
	s_waitcnt lgkmcnt(0)
	v_add_u32_e32 v1, v11, v10
	v_add3_u32 v1, v1, v12, v13
	v_add3_u32 v1, v1, v6, v7
	;; [unrolled: 1-line block ×6, first 2 shown]
	v_mbcnt_lo_u32_b32 v1, -1, 0
	v_mbcnt_hi_u32_b32 v1, -1, v1
	v_and_b32_e32 v16, 15, v1
	v_mov_b32_dpp v17, v15 row_shr:1 row_mask:0xf bank_mask:0xf
	v_cmp_ne_u32_e32 vcc, 0, v16
	s_barrier
	s_nop 0
	v_cndmask_b32_e32 v17, 0, v17, vcc
	v_add_u32_e32 v15, v17, v15
	v_cmp_lt_u32_e32 vcc, 1, v16
	s_nop 0
	v_mov_b32_dpp v17, v15 row_shr:2 row_mask:0xf bank_mask:0xf
	v_cndmask_b32_e32 v17, 0, v17, vcc
	v_add_u32_e32 v15, v15, v17
	v_cmp_lt_u32_e32 vcc, 3, v16
	s_nop 0
	v_mov_b32_dpp v17, v15 row_shr:4 row_mask:0xf bank_mask:0xf
	;; [unrolled: 5-line block ×3, first 2 shown]
	v_cndmask_b32_e32 v16, 0, v17, vcc
	v_add_u32_e32 v15, v15, v16
	v_bfe_i32 v17, v1, 4, 1
	v_cmp_lt_u32_e32 vcc, 31, v1
	v_mov_b32_dpp v16, v15 row_bcast:15 row_mask:0xf bank_mask:0xf
	v_and_b32_e32 v16, v17, v16
	v_add_u32_e32 v15, v15, v16
	v_lshrrev_b32_e32 v17, 6, v0
	s_nop 0
	v_mov_b32_dpp v16, v15 row_bcast:31 row_mask:0xf bank_mask:0xf
	v_cndmask_b32_e32 v16, 0, v16, vcc
	v_add_u32_e32 v15, v15, v16
	v_or_b32_e32 v16, 63, v0
	v_cmp_eq_u32_e32 vcc, v0, v16
	s_and_saveexec_b64 s[30:31], vcc
; %bb.29:
	v_lshlrev_b32_e32 v16, 2, v17
	ds_write_b32 v16, v15
; %bb.30:
	s_or_b64 exec, exec, s[30:31]
	v_cmp_gt_u32_e32 vcc, 4, v0
	s_waitcnt lgkmcnt(0)
	s_barrier
	s_and_saveexec_b64 s[30:31], vcc
	s_cbranch_execz .LBB17_32
; %bb.31:
	ds_read_b32 v16, v18
	v_and_b32_e32 v19, 3, v1
	v_cmp_ne_u32_e32 vcc, 0, v19
	s_waitcnt lgkmcnt(0)
	v_mov_b32_dpp v20, v16 row_shr:1 row_mask:0xf bank_mask:0xf
	v_cndmask_b32_e32 v20, 0, v20, vcc
	v_add_u32_e32 v16, v20, v16
	v_cmp_lt_u32_e32 vcc, 1, v19
	s_nop 0
	v_mov_b32_dpp v20, v16 row_shr:2 row_mask:0xf bank_mask:0xf
	v_cndmask_b32_e32 v19, 0, v20, vcc
	v_add_u32_e32 v16, v16, v19
	ds_write_b32 v18, v16
.LBB17_32:
	s_or_b64 exec, exec, s[30:31]
	s_load_dword s33, s[0:1], 0x10
	v_mul_u32_u24_e32 v16, 52, v0
	v_cmp_lt_u32_e32 vcc, 63, v0
	s_waitcnt lgkmcnt(0)
	s_barrier
	v_mov_b32_e32 v19, s33
	s_and_saveexec_b64 s[30:31], vcc
	s_cbranch_execz .LBB17_34
; %bb.33:
	v_lshl_add_u32 v17, v17, 2, -4
	ds_read_b32 v17, v17
	s_waitcnt lgkmcnt(0)
	v_add_u32_e32 v19, s33, v17
.LBB17_34:
	s_or_b64 exec, exec, s[30:31]
	v_subrev_co_u32_e32 v17, vcc, 1, v1
	v_and_b32_e32 v20, 64, v1
	v_cmp_lt_i32_e64 s[30:31], v17, v20
	v_add_u32_e32 v15, v19, v15
	s_nop 0
	v_cndmask_b32_e64 v1, v17, v1, s[30:31]
	v_lshlrev_b32_e32 v1, 2, v1
	ds_bpermute_b32 v1, v1, v15
	v_mov_b32_e32 v15, s33
	s_barrier
	s_waitcnt lgkmcnt(0)
	s_load_dwordx2 s[0:1], s[0:1], 0x18
	v_cndmask_b32_e32 v1, v1, v19, vcc
	v_cmp_eq_u32_e32 vcc, 0, v0
	v_mov_b32_e32 v19, 0
	s_nop 0
	v_cndmask_b32_e32 v0, v1, v15, vcc
	v_add_u32_e32 v1, v0, v10
	v_add_u32_e32 v10, v1, v11
	;; [unrolled: 1-line block ×14, first 2 shown]
	ds_write2_b64 v14, v[0:1], v[10:11] offset1:1
	ds_write2_b64 v14, v[12:13], v[6:7] offset0:2 offset1:3
	ds_write2_b64 v14, v[8:9], v[2:3] offset0:4 offset1:5
	ds_write_b64 v14, v[4:5] offset:48
	s_waitcnt lgkmcnt(0)
	s_barrier
	ds_read2st64_b32 v[12:13], v18 offset0:4 offset1:8
	ds_read2st64_b32 v[10:11], v18 offset0:12 offset1:16
	;; [unrolled: 1-line block ×6, first 2 shown]
	ds_read_b32 v14, v18 offset:13312
	v_lshl_add_u64 v[0:1], s[0:1], 0, v[18:19]
	s_and_saveexec_b64 s[0:1], s[2:3]
	s_cbranch_execnz .LBB17_49
; %bb.35:
	s_or_b64 exec, exec, s[0:1]
	s_and_saveexec_b64 s[0:1], s[4:5]
	s_cbranch_execnz .LBB17_50
.LBB17_36:
	s_or_b64 exec, exec, s[0:1]
	s_and_saveexec_b64 s[0:1], s[6:7]
	s_cbranch_execnz .LBB17_51
.LBB17_37:
	s_or_b64 exec, exec, s[0:1]
	s_and_saveexec_b64 s[0:1], s[8:9]
	s_cbranch_execnz .LBB17_52
.LBB17_38:
	s_or_b64 exec, exec, s[0:1]
	s_and_saveexec_b64 s[0:1], s[10:11]
	s_cbranch_execnz .LBB17_53
.LBB17_39:
	s_or_b64 exec, exec, s[0:1]
	s_and_saveexec_b64 s[0:1], s[12:13]
	s_cbranch_execnz .LBB17_54
.LBB17_40:
	s_or_b64 exec, exec, s[0:1]
	s_and_saveexec_b64 s[0:1], s[14:15]
	s_cbranch_execnz .LBB17_55
.LBB17_41:
	s_or_b64 exec, exec, s[0:1]
	s_and_saveexec_b64 s[0:1], s[16:17]
	s_cbranch_execnz .LBB17_56
.LBB17_42:
	s_or_b64 exec, exec, s[0:1]
	s_and_saveexec_b64 s[0:1], s[18:19]
	s_cbranch_execnz .LBB17_57
.LBB17_43:
	s_or_b64 exec, exec, s[0:1]
	s_and_saveexec_b64 s[0:1], s[20:21]
	s_cbranch_execnz .LBB17_58
.LBB17_44:
	s_or_b64 exec, exec, s[0:1]
	s_and_saveexec_b64 s[0:1], s[22:23]
	s_cbranch_execnz .LBB17_59
.LBB17_45:
	s_or_b64 exec, exec, s[0:1]
	s_and_saveexec_b64 s[0:1], s[24:25]
	s_cbranch_execnz .LBB17_60
.LBB17_46:
	s_or_b64 exec, exec, s[0:1]
	s_and_saveexec_b64 s[0:1], s[26:27]
	s_cbranch_execnz .LBB17_61
.LBB17_47:
	s_or_b64 exec, exec, s[0:1]
	s_and_saveexec_b64 s[0:1], s[28:29]
	s_cbranch_execnz .LBB17_62
.LBB17_48:
	s_endpgm
.LBB17_49:
	ds_read_b32 v15, v18
	s_waitcnt lgkmcnt(0)
	global_store_dword v[0:1], v15, off
	s_or_b64 exec, exec, s[0:1]
	s_and_saveexec_b64 s[0:1], s[4:5]
	s_cbranch_execz .LBB17_36
.LBB17_50:
	s_waitcnt lgkmcnt(6)
	global_store_dword v[0:1], v12, off offset:1024
	s_or_b64 exec, exec, s[0:1]
	s_and_saveexec_b64 s[0:1], s[6:7]
	s_cbranch_execz .LBB17_37
.LBB17_51:
	s_waitcnt lgkmcnt(6)
	global_store_dword v[0:1], v13, off offset:2048
	s_or_b64 exec, exec, s[0:1]
	s_and_saveexec_b64 s[0:1], s[8:9]
	s_cbranch_execz .LBB17_38
.LBB17_52:
	s_waitcnt lgkmcnt(5)
	global_store_dword v[0:1], v10, off offset:3072
	s_or_b64 exec, exec, s[0:1]
	s_and_saveexec_b64 s[0:1], s[10:11]
	s_cbranch_execz .LBB17_39
.LBB17_53:
	s_waitcnt lgkmcnt(6)
	v_add_co_u32_e32 v12, vcc, 0x1000, v0
	s_nop 1
	v_addc_co_u32_e32 v13, vcc, 0, v1, vcc
	s_waitcnt lgkmcnt(5)
	global_store_dword v[12:13], v11, off
	s_or_b64 exec, exec, s[0:1]
	s_and_saveexec_b64 s[0:1], s[12:13]
	s_cbranch_execz .LBB17_40
.LBB17_54:
	s_waitcnt lgkmcnt(5)
	v_add_co_u32_e32 v10, vcc, 0x1000, v0
	s_nop 1
	v_addc_co_u32_e32 v11, vcc, 0, v1, vcc
	s_waitcnt lgkmcnt(4)
	global_store_dword v[10:11], v8, off offset:1024
	s_or_b64 exec, exec, s[0:1]
	s_and_saveexec_b64 s[0:1], s[14:15]
	s_cbranch_execz .LBB17_41
.LBB17_55:
	s_waitcnt lgkmcnt(5)
	v_add_co_u32_e32 v10, vcc, 0x1000, v0
	s_nop 1
	v_addc_co_u32_e32 v11, vcc, 0, v1, vcc
	s_waitcnt lgkmcnt(4)
	global_store_dword v[10:11], v9, off offset:2048
	s_or_b64 exec, exec, s[0:1]
	s_and_saveexec_b64 s[0:1], s[16:17]
	s_cbranch_execz .LBB17_42
.LBB17_56:
	s_waitcnt lgkmcnt(4)
	v_add_co_u32_e32 v8, vcc, 0x1000, v0
	s_nop 1
	v_addc_co_u32_e32 v9, vcc, 0, v1, vcc
	s_waitcnt lgkmcnt(3)
	global_store_dword v[8:9], v6, off offset:3072
	s_or_b64 exec, exec, s[0:1]
	s_and_saveexec_b64 s[0:1], s[18:19]
	s_cbranch_execz .LBB17_43
.LBB17_57:
	s_waitcnt lgkmcnt(4)
	v_add_co_u32_e32 v8, vcc, 0x2000, v0
	s_nop 1
	v_addc_co_u32_e32 v9, vcc, 0, v1, vcc
	s_waitcnt lgkmcnt(3)
	global_store_dword v[8:9], v7, off
	s_or_b64 exec, exec, s[0:1]
	s_and_saveexec_b64 s[0:1], s[20:21]
	s_cbranch_execz .LBB17_44
.LBB17_58:
	s_waitcnt lgkmcnt(3)
	v_add_co_u32_e32 v6, vcc, 0x2000, v0
	s_nop 1
	v_addc_co_u32_e32 v7, vcc, 0, v1, vcc
	s_waitcnt lgkmcnt(2)
	global_store_dword v[6:7], v4, off offset:1024
	s_or_b64 exec, exec, s[0:1]
	s_and_saveexec_b64 s[0:1], s[22:23]
	s_cbranch_execz .LBB17_45
.LBB17_59:
	s_waitcnt lgkmcnt(3)
	v_add_co_u32_e32 v6, vcc, 0x2000, v0
	s_nop 1
	v_addc_co_u32_e32 v7, vcc, 0, v1, vcc
	s_waitcnt lgkmcnt(2)
	global_store_dword v[6:7], v5, off offset:2048
	s_or_b64 exec, exec, s[0:1]
	s_and_saveexec_b64 s[0:1], s[24:25]
	s_cbranch_execz .LBB17_46
.LBB17_60:
	s_waitcnt lgkmcnt(2)
	v_add_co_u32_e32 v4, vcc, 0x2000, v0
	s_nop 1
	v_addc_co_u32_e32 v5, vcc, 0, v1, vcc
	s_waitcnt lgkmcnt(1)
	global_store_dword v[4:5], v2, off offset:3072
	s_or_b64 exec, exec, s[0:1]
	s_and_saveexec_b64 s[0:1], s[26:27]
	s_cbranch_execz .LBB17_47
.LBB17_61:
	s_waitcnt lgkmcnt(2)
	v_add_co_u32_e32 v4, vcc, 0x3000, v0
	s_nop 1
	v_addc_co_u32_e32 v5, vcc, 0, v1, vcc
	s_waitcnt lgkmcnt(1)
	global_store_dword v[4:5], v3, off
	s_or_b64 exec, exec, s[0:1]
	s_and_saveexec_b64 s[0:1], s[28:29]
	s_cbranch_execz .LBB17_48
.LBB17_62:
	v_add_co_u32_e32 v0, vcc, 0x3000, v0
	s_nop 1
	v_addc_co_u32_e32 v1, vcc, 0, v1, vcc
	s_waitcnt lgkmcnt(0)
	global_store_dword v[0:1], v14, off offset:1024
	s_endpgm
	.section	.rodata,"a",@progbits
	.p2align	6, 0x0
	.amdhsa_kernel _ZN7rocprim17ROCPRIM_304000_NS6detail18single_scan_kernelILb1ENS1_19wrapped_scan_configINS0_14default_configEiEEPKiPiN2at4cuda3cub12_GLOBAL__N_15SumOpIiEEiiEEvT1_mT4_T2_T3_
		.amdhsa_group_segment_fixed_size 14336
		.amdhsa_private_segment_fixed_size 0
		.amdhsa_kernarg_size 36
		.amdhsa_user_sgpr_count 2
		.amdhsa_user_sgpr_dispatch_ptr 0
		.amdhsa_user_sgpr_queue_ptr 0
		.amdhsa_user_sgpr_kernarg_segment_ptr 1
		.amdhsa_user_sgpr_dispatch_id 0
		.amdhsa_user_sgpr_kernarg_preload_length 0
		.amdhsa_user_sgpr_kernarg_preload_offset 0
		.amdhsa_user_sgpr_private_segment_size 0
		.amdhsa_uses_dynamic_stack 0
		.amdhsa_enable_private_segment 0
		.amdhsa_system_sgpr_workgroup_id_x 1
		.amdhsa_system_sgpr_workgroup_id_y 0
		.amdhsa_system_sgpr_workgroup_id_z 0
		.amdhsa_system_sgpr_workgroup_info 0
		.amdhsa_system_vgpr_workitem_id 0
		.amdhsa_next_free_vgpr 22
		.amdhsa_next_free_sgpr 34
		.amdhsa_accum_offset 24
		.amdhsa_reserve_vcc 1
		.amdhsa_float_round_mode_32 0
		.amdhsa_float_round_mode_16_64 0
		.amdhsa_float_denorm_mode_32 3
		.amdhsa_float_denorm_mode_16_64 3
		.amdhsa_dx10_clamp 1
		.amdhsa_ieee_mode 1
		.amdhsa_fp16_overflow 0
		.amdhsa_tg_split 0
		.amdhsa_exception_fp_ieee_invalid_op 0
		.amdhsa_exception_fp_denorm_src 0
		.amdhsa_exception_fp_ieee_div_zero 0
		.amdhsa_exception_fp_ieee_overflow 0
		.amdhsa_exception_fp_ieee_underflow 0
		.amdhsa_exception_fp_ieee_inexact 0
		.amdhsa_exception_int_div_zero 0
	.end_amdhsa_kernel
	.section	.text._ZN7rocprim17ROCPRIM_304000_NS6detail18single_scan_kernelILb1ENS1_19wrapped_scan_configINS0_14default_configEiEEPKiPiN2at4cuda3cub12_GLOBAL__N_15SumOpIiEEiiEEvT1_mT4_T2_T3_,"axG",@progbits,_ZN7rocprim17ROCPRIM_304000_NS6detail18single_scan_kernelILb1ENS1_19wrapped_scan_configINS0_14default_configEiEEPKiPiN2at4cuda3cub12_GLOBAL__N_15SumOpIiEEiiEEvT1_mT4_T2_T3_,comdat
.Lfunc_end17:
	.size	_ZN7rocprim17ROCPRIM_304000_NS6detail18single_scan_kernelILb1ENS1_19wrapped_scan_configINS0_14default_configEiEEPKiPiN2at4cuda3cub12_GLOBAL__N_15SumOpIiEEiiEEvT1_mT4_T2_T3_, .Lfunc_end17-_ZN7rocprim17ROCPRIM_304000_NS6detail18single_scan_kernelILb1ENS1_19wrapped_scan_configINS0_14default_configEiEEPKiPiN2at4cuda3cub12_GLOBAL__N_15SumOpIiEEiiEEvT1_mT4_T2_T3_
                                        ; -- End function
	.set _ZN7rocprim17ROCPRIM_304000_NS6detail18single_scan_kernelILb1ENS1_19wrapped_scan_configINS0_14default_configEiEEPKiPiN2at4cuda3cub12_GLOBAL__N_15SumOpIiEEiiEEvT1_mT4_T2_T3_.num_vgpr, 22
	.set _ZN7rocprim17ROCPRIM_304000_NS6detail18single_scan_kernelILb1ENS1_19wrapped_scan_configINS0_14default_configEiEEPKiPiN2at4cuda3cub12_GLOBAL__N_15SumOpIiEEiiEEvT1_mT4_T2_T3_.num_agpr, 0
	.set _ZN7rocprim17ROCPRIM_304000_NS6detail18single_scan_kernelILb1ENS1_19wrapped_scan_configINS0_14default_configEiEEPKiPiN2at4cuda3cub12_GLOBAL__N_15SumOpIiEEiiEEvT1_mT4_T2_T3_.numbered_sgpr, 34
	.set _ZN7rocprim17ROCPRIM_304000_NS6detail18single_scan_kernelILb1ENS1_19wrapped_scan_configINS0_14default_configEiEEPKiPiN2at4cuda3cub12_GLOBAL__N_15SumOpIiEEiiEEvT1_mT4_T2_T3_.num_named_barrier, 0
	.set _ZN7rocprim17ROCPRIM_304000_NS6detail18single_scan_kernelILb1ENS1_19wrapped_scan_configINS0_14default_configEiEEPKiPiN2at4cuda3cub12_GLOBAL__N_15SumOpIiEEiiEEvT1_mT4_T2_T3_.private_seg_size, 0
	.set _ZN7rocprim17ROCPRIM_304000_NS6detail18single_scan_kernelILb1ENS1_19wrapped_scan_configINS0_14default_configEiEEPKiPiN2at4cuda3cub12_GLOBAL__N_15SumOpIiEEiiEEvT1_mT4_T2_T3_.uses_vcc, 1
	.set _ZN7rocprim17ROCPRIM_304000_NS6detail18single_scan_kernelILb1ENS1_19wrapped_scan_configINS0_14default_configEiEEPKiPiN2at4cuda3cub12_GLOBAL__N_15SumOpIiEEiiEEvT1_mT4_T2_T3_.uses_flat_scratch, 0
	.set _ZN7rocprim17ROCPRIM_304000_NS6detail18single_scan_kernelILb1ENS1_19wrapped_scan_configINS0_14default_configEiEEPKiPiN2at4cuda3cub12_GLOBAL__N_15SumOpIiEEiiEEvT1_mT4_T2_T3_.has_dyn_sized_stack, 0
	.set _ZN7rocprim17ROCPRIM_304000_NS6detail18single_scan_kernelILb1ENS1_19wrapped_scan_configINS0_14default_configEiEEPKiPiN2at4cuda3cub12_GLOBAL__N_15SumOpIiEEiiEEvT1_mT4_T2_T3_.has_recursion, 0
	.set _ZN7rocprim17ROCPRIM_304000_NS6detail18single_scan_kernelILb1ENS1_19wrapped_scan_configINS0_14default_configEiEEPKiPiN2at4cuda3cub12_GLOBAL__N_15SumOpIiEEiiEEvT1_mT4_T2_T3_.has_indirect_call, 0
	.section	.AMDGPU.csdata,"",@progbits
; Kernel info:
; codeLenInByte = 2300
; TotalNumSgprs: 40
; NumVgprs: 22
; NumAgprs: 0
; TotalNumVgprs: 22
; ScratchSize: 0
; MemoryBound: 0
; FloatMode: 240
; IeeeMode: 1
; LDSByteSize: 14336 bytes/workgroup (compile time only)
; SGPRBlocks: 4
; VGPRBlocks: 2
; NumSGPRsForWavesPerEU: 40
; NumVGPRsForWavesPerEU: 22
; AccumOffset: 24
; Occupancy: 8
; WaveLimiterHint : 0
; COMPUTE_PGM_RSRC2:SCRATCH_EN: 0
; COMPUTE_PGM_RSRC2:USER_SGPR: 2
; COMPUTE_PGM_RSRC2:TRAP_HANDLER: 0
; COMPUTE_PGM_RSRC2:TGID_X_EN: 1
; COMPUTE_PGM_RSRC2:TGID_Y_EN: 0
; COMPUTE_PGM_RSRC2:TGID_Z_EN: 0
; COMPUTE_PGM_RSRC2:TIDIG_COMP_CNT: 0
; COMPUTE_PGM_RSRC3_GFX90A:ACCUM_OFFSET: 5
; COMPUTE_PGM_RSRC3_GFX90A:TG_SPLIT: 0
	.section	.text._ZN7rocprim17ROCPRIM_304000_NS6detail20lookback_scan_kernelILNS1_25lookback_scan_determinismE0ELb1ENS1_19wrapped_scan_configINS0_14default_configElEEPKlPlN2at4cuda3cub12_GLOBAL__N_15SumOpIlEEllNS1_19lookback_scan_stateIlLb1ELb1EEEEEvT2_T3_mT5_T4_T7_jPT6_SO_bb,"axG",@progbits,_ZN7rocprim17ROCPRIM_304000_NS6detail20lookback_scan_kernelILNS1_25lookback_scan_determinismE0ELb1ENS1_19wrapped_scan_configINS0_14default_configElEEPKlPlN2at4cuda3cub12_GLOBAL__N_15SumOpIlEEllNS1_19lookback_scan_stateIlLb1ELb1EEEEEvT2_T3_mT5_T4_T7_jPT6_SO_bb,comdat
	.globl	_ZN7rocprim17ROCPRIM_304000_NS6detail20lookback_scan_kernelILNS1_25lookback_scan_determinismE0ELb1ENS1_19wrapped_scan_configINS0_14default_configElEEPKlPlN2at4cuda3cub12_GLOBAL__N_15SumOpIlEEllNS1_19lookback_scan_stateIlLb1ELb1EEEEEvT2_T3_mT5_T4_T7_jPT6_SO_bb ; -- Begin function _ZN7rocprim17ROCPRIM_304000_NS6detail20lookback_scan_kernelILNS1_25lookback_scan_determinismE0ELb1ENS1_19wrapped_scan_configINS0_14default_configElEEPKlPlN2at4cuda3cub12_GLOBAL__N_15SumOpIlEEllNS1_19lookback_scan_stateIlLb1ELb1EEEEEvT2_T3_mT5_T4_T7_jPT6_SO_bb
	.p2align	8
	.type	_ZN7rocprim17ROCPRIM_304000_NS6detail20lookback_scan_kernelILNS1_25lookback_scan_determinismE0ELb1ENS1_19wrapped_scan_configINS0_14default_configElEEPKlPlN2at4cuda3cub12_GLOBAL__N_15SumOpIlEEllNS1_19lookback_scan_stateIlLb1ELb1EEEEEvT2_T3_mT5_T4_T7_jPT6_SO_bb,@function
_ZN7rocprim17ROCPRIM_304000_NS6detail20lookback_scan_kernelILNS1_25lookback_scan_determinismE0ELb1ENS1_19wrapped_scan_configINS0_14default_configElEEPKlPlN2at4cuda3cub12_GLOBAL__N_15SumOpIlEEllNS1_19lookback_scan_stateIlLb1ELb1EEEEEvT2_T3_mT5_T4_T7_jPT6_SO_bb: ; @_ZN7rocprim17ROCPRIM_304000_NS6detail20lookback_scan_kernelILNS1_25lookback_scan_determinismE0ELb1ENS1_19wrapped_scan_configINS0_14default_configElEEPKlPlN2at4cuda3cub12_GLOBAL__N_15SumOpIlEEllNS1_19lookback_scan_stateIlLb1ELb1EEEEEvT2_T3_mT5_T4_T7_jPT6_SO_bb
; %bb.0:
	s_endpgm
	.section	.rodata,"a",@progbits
	.p2align	6, 0x0
	.amdhsa_kernel _ZN7rocprim17ROCPRIM_304000_NS6detail20lookback_scan_kernelILNS1_25lookback_scan_determinismE0ELb1ENS1_19wrapped_scan_configINS0_14default_configElEEPKlPlN2at4cuda3cub12_GLOBAL__N_15SumOpIlEEllNS1_19lookback_scan_stateIlLb1ELb1EEEEEvT2_T3_mT5_T4_T7_jPT6_SO_bb
		.amdhsa_group_segment_fixed_size 0
		.amdhsa_private_segment_fixed_size 0
		.amdhsa_kernarg_size 76
		.amdhsa_user_sgpr_count 2
		.amdhsa_user_sgpr_dispatch_ptr 0
		.amdhsa_user_sgpr_queue_ptr 0
		.amdhsa_user_sgpr_kernarg_segment_ptr 1
		.amdhsa_user_sgpr_dispatch_id 0
		.amdhsa_user_sgpr_kernarg_preload_length 0
		.amdhsa_user_sgpr_kernarg_preload_offset 0
		.amdhsa_user_sgpr_private_segment_size 0
		.amdhsa_uses_dynamic_stack 0
		.amdhsa_enable_private_segment 0
		.amdhsa_system_sgpr_workgroup_id_x 1
		.amdhsa_system_sgpr_workgroup_id_y 0
		.amdhsa_system_sgpr_workgroup_id_z 0
		.amdhsa_system_sgpr_workgroup_info 0
		.amdhsa_system_vgpr_workitem_id 0
		.amdhsa_next_free_vgpr 1
		.amdhsa_next_free_sgpr 0
		.amdhsa_accum_offset 4
		.amdhsa_reserve_vcc 0
		.amdhsa_float_round_mode_32 0
		.amdhsa_float_round_mode_16_64 0
		.amdhsa_float_denorm_mode_32 3
		.amdhsa_float_denorm_mode_16_64 3
		.amdhsa_dx10_clamp 1
		.amdhsa_ieee_mode 1
		.amdhsa_fp16_overflow 0
		.amdhsa_tg_split 0
		.amdhsa_exception_fp_ieee_invalid_op 0
		.amdhsa_exception_fp_denorm_src 0
		.amdhsa_exception_fp_ieee_div_zero 0
		.amdhsa_exception_fp_ieee_overflow 0
		.amdhsa_exception_fp_ieee_underflow 0
		.amdhsa_exception_fp_ieee_inexact 0
		.amdhsa_exception_int_div_zero 0
	.end_amdhsa_kernel
	.section	.text._ZN7rocprim17ROCPRIM_304000_NS6detail20lookback_scan_kernelILNS1_25lookback_scan_determinismE0ELb1ENS1_19wrapped_scan_configINS0_14default_configElEEPKlPlN2at4cuda3cub12_GLOBAL__N_15SumOpIlEEllNS1_19lookback_scan_stateIlLb1ELb1EEEEEvT2_T3_mT5_T4_T7_jPT6_SO_bb,"axG",@progbits,_ZN7rocprim17ROCPRIM_304000_NS6detail20lookback_scan_kernelILNS1_25lookback_scan_determinismE0ELb1ENS1_19wrapped_scan_configINS0_14default_configElEEPKlPlN2at4cuda3cub12_GLOBAL__N_15SumOpIlEEllNS1_19lookback_scan_stateIlLb1ELb1EEEEEvT2_T3_mT5_T4_T7_jPT6_SO_bb,comdat
.Lfunc_end18:
	.size	_ZN7rocprim17ROCPRIM_304000_NS6detail20lookback_scan_kernelILNS1_25lookback_scan_determinismE0ELb1ENS1_19wrapped_scan_configINS0_14default_configElEEPKlPlN2at4cuda3cub12_GLOBAL__N_15SumOpIlEEllNS1_19lookback_scan_stateIlLb1ELb1EEEEEvT2_T3_mT5_T4_T7_jPT6_SO_bb, .Lfunc_end18-_ZN7rocprim17ROCPRIM_304000_NS6detail20lookback_scan_kernelILNS1_25lookback_scan_determinismE0ELb1ENS1_19wrapped_scan_configINS0_14default_configElEEPKlPlN2at4cuda3cub12_GLOBAL__N_15SumOpIlEEllNS1_19lookback_scan_stateIlLb1ELb1EEEEEvT2_T3_mT5_T4_T7_jPT6_SO_bb
                                        ; -- End function
	.set _ZN7rocprim17ROCPRIM_304000_NS6detail20lookback_scan_kernelILNS1_25lookback_scan_determinismE0ELb1ENS1_19wrapped_scan_configINS0_14default_configElEEPKlPlN2at4cuda3cub12_GLOBAL__N_15SumOpIlEEllNS1_19lookback_scan_stateIlLb1ELb1EEEEEvT2_T3_mT5_T4_T7_jPT6_SO_bb.num_vgpr, 0
	.set _ZN7rocprim17ROCPRIM_304000_NS6detail20lookback_scan_kernelILNS1_25lookback_scan_determinismE0ELb1ENS1_19wrapped_scan_configINS0_14default_configElEEPKlPlN2at4cuda3cub12_GLOBAL__N_15SumOpIlEEllNS1_19lookback_scan_stateIlLb1ELb1EEEEEvT2_T3_mT5_T4_T7_jPT6_SO_bb.num_agpr, 0
	.set _ZN7rocprim17ROCPRIM_304000_NS6detail20lookback_scan_kernelILNS1_25lookback_scan_determinismE0ELb1ENS1_19wrapped_scan_configINS0_14default_configElEEPKlPlN2at4cuda3cub12_GLOBAL__N_15SumOpIlEEllNS1_19lookback_scan_stateIlLb1ELb1EEEEEvT2_T3_mT5_T4_T7_jPT6_SO_bb.numbered_sgpr, 0
	.set _ZN7rocprim17ROCPRIM_304000_NS6detail20lookback_scan_kernelILNS1_25lookback_scan_determinismE0ELb1ENS1_19wrapped_scan_configINS0_14default_configElEEPKlPlN2at4cuda3cub12_GLOBAL__N_15SumOpIlEEllNS1_19lookback_scan_stateIlLb1ELb1EEEEEvT2_T3_mT5_T4_T7_jPT6_SO_bb.num_named_barrier, 0
	.set _ZN7rocprim17ROCPRIM_304000_NS6detail20lookback_scan_kernelILNS1_25lookback_scan_determinismE0ELb1ENS1_19wrapped_scan_configINS0_14default_configElEEPKlPlN2at4cuda3cub12_GLOBAL__N_15SumOpIlEEllNS1_19lookback_scan_stateIlLb1ELb1EEEEEvT2_T3_mT5_T4_T7_jPT6_SO_bb.private_seg_size, 0
	.set _ZN7rocprim17ROCPRIM_304000_NS6detail20lookback_scan_kernelILNS1_25lookback_scan_determinismE0ELb1ENS1_19wrapped_scan_configINS0_14default_configElEEPKlPlN2at4cuda3cub12_GLOBAL__N_15SumOpIlEEllNS1_19lookback_scan_stateIlLb1ELb1EEEEEvT2_T3_mT5_T4_T7_jPT6_SO_bb.uses_vcc, 0
	.set _ZN7rocprim17ROCPRIM_304000_NS6detail20lookback_scan_kernelILNS1_25lookback_scan_determinismE0ELb1ENS1_19wrapped_scan_configINS0_14default_configElEEPKlPlN2at4cuda3cub12_GLOBAL__N_15SumOpIlEEllNS1_19lookback_scan_stateIlLb1ELb1EEEEEvT2_T3_mT5_T4_T7_jPT6_SO_bb.uses_flat_scratch, 0
	.set _ZN7rocprim17ROCPRIM_304000_NS6detail20lookback_scan_kernelILNS1_25lookback_scan_determinismE0ELb1ENS1_19wrapped_scan_configINS0_14default_configElEEPKlPlN2at4cuda3cub12_GLOBAL__N_15SumOpIlEEllNS1_19lookback_scan_stateIlLb1ELb1EEEEEvT2_T3_mT5_T4_T7_jPT6_SO_bb.has_dyn_sized_stack, 0
	.set _ZN7rocprim17ROCPRIM_304000_NS6detail20lookback_scan_kernelILNS1_25lookback_scan_determinismE0ELb1ENS1_19wrapped_scan_configINS0_14default_configElEEPKlPlN2at4cuda3cub12_GLOBAL__N_15SumOpIlEEllNS1_19lookback_scan_stateIlLb1ELb1EEEEEvT2_T3_mT5_T4_T7_jPT6_SO_bb.has_recursion, 0
	.set _ZN7rocprim17ROCPRIM_304000_NS6detail20lookback_scan_kernelILNS1_25lookback_scan_determinismE0ELb1ENS1_19wrapped_scan_configINS0_14default_configElEEPKlPlN2at4cuda3cub12_GLOBAL__N_15SumOpIlEEllNS1_19lookback_scan_stateIlLb1ELb1EEEEEvT2_T3_mT5_T4_T7_jPT6_SO_bb.has_indirect_call, 0
	.section	.AMDGPU.csdata,"",@progbits
; Kernel info:
; codeLenInByte = 4
; TotalNumSgprs: 6
; NumVgprs: 0
; NumAgprs: 0
; TotalNumVgprs: 0
; ScratchSize: 0
; MemoryBound: 0
; FloatMode: 240
; IeeeMode: 1
; LDSByteSize: 0 bytes/workgroup (compile time only)
; SGPRBlocks: 0
; VGPRBlocks: 0
; NumSGPRsForWavesPerEU: 6
; NumVGPRsForWavesPerEU: 1
; AccumOffset: 4
; Occupancy: 8
; WaveLimiterHint : 0
; COMPUTE_PGM_RSRC2:SCRATCH_EN: 0
; COMPUTE_PGM_RSRC2:USER_SGPR: 2
; COMPUTE_PGM_RSRC2:TRAP_HANDLER: 0
; COMPUTE_PGM_RSRC2:TGID_X_EN: 1
; COMPUTE_PGM_RSRC2:TGID_Y_EN: 0
; COMPUTE_PGM_RSRC2:TGID_Z_EN: 0
; COMPUTE_PGM_RSRC2:TIDIG_COMP_CNT: 0
; COMPUTE_PGM_RSRC3_GFX90A:ACCUM_OFFSET: 0
; COMPUTE_PGM_RSRC3_GFX90A:TG_SPLIT: 0
	.section	.text._ZN7rocprim17ROCPRIM_304000_NS6detail20lookback_scan_kernelILNS1_25lookback_scan_determinismE0ELb1ENS1_19wrapped_scan_configINS0_14default_configElEEPKlPlN2at4cuda3cub12_GLOBAL__N_15SumOpIlEEllNS1_19lookback_scan_stateIlLb0ELb1EEEEEvT2_T3_mT5_T4_T7_jPT6_SO_bb,"axG",@progbits,_ZN7rocprim17ROCPRIM_304000_NS6detail20lookback_scan_kernelILNS1_25lookback_scan_determinismE0ELb1ENS1_19wrapped_scan_configINS0_14default_configElEEPKlPlN2at4cuda3cub12_GLOBAL__N_15SumOpIlEEllNS1_19lookback_scan_stateIlLb0ELb1EEEEEvT2_T3_mT5_T4_T7_jPT6_SO_bb,comdat
	.globl	_ZN7rocprim17ROCPRIM_304000_NS6detail20lookback_scan_kernelILNS1_25lookback_scan_determinismE0ELb1ENS1_19wrapped_scan_configINS0_14default_configElEEPKlPlN2at4cuda3cub12_GLOBAL__N_15SumOpIlEEllNS1_19lookback_scan_stateIlLb0ELb1EEEEEvT2_T3_mT5_T4_T7_jPT6_SO_bb ; -- Begin function _ZN7rocprim17ROCPRIM_304000_NS6detail20lookback_scan_kernelILNS1_25lookback_scan_determinismE0ELb1ENS1_19wrapped_scan_configINS0_14default_configElEEPKlPlN2at4cuda3cub12_GLOBAL__N_15SumOpIlEEllNS1_19lookback_scan_stateIlLb0ELb1EEEEEvT2_T3_mT5_T4_T7_jPT6_SO_bb
	.p2align	8
	.type	_ZN7rocprim17ROCPRIM_304000_NS6detail20lookback_scan_kernelILNS1_25lookback_scan_determinismE0ELb1ENS1_19wrapped_scan_configINS0_14default_configElEEPKlPlN2at4cuda3cub12_GLOBAL__N_15SumOpIlEEllNS1_19lookback_scan_stateIlLb0ELb1EEEEEvT2_T3_mT5_T4_T7_jPT6_SO_bb,@function
_ZN7rocprim17ROCPRIM_304000_NS6detail20lookback_scan_kernelILNS1_25lookback_scan_determinismE0ELb1ENS1_19wrapped_scan_configINS0_14default_configElEEPKlPlN2at4cuda3cub12_GLOBAL__N_15SumOpIlEEllNS1_19lookback_scan_stateIlLb0ELb1EEEEEvT2_T3_mT5_T4_T7_jPT6_SO_bb: ; @_ZN7rocprim17ROCPRIM_304000_NS6detail20lookback_scan_kernelILNS1_25lookback_scan_determinismE0ELb1ENS1_19wrapped_scan_configINS0_14default_configElEEPKlPlN2at4cuda3cub12_GLOBAL__N_15SumOpIlEEllNS1_19lookback_scan_stateIlLb0ELb1EEEEEvT2_T3_mT5_T4_T7_jPT6_SO_bb
; %bb.0:
	s_load_dword s3, s[0:1], 0x30
	s_load_dwordx8 s[20:27], s[0:1], 0x0
	s_mul_i32 s4, s2, 0x600
	s_mov_b32 s5, 0
	v_lshlrev_b32_e32 v26, 3, v0
	s_waitcnt lgkmcnt(0)
	s_add_i32 s3, s3, -1
	s_mul_i32 s6, s3, 0x600
	s_sub_u32 s30, s24, s6
	s_subb_u32 s31, s25, 0
	s_cmp_lg_u32 s2, s3
	s_cselect_b64 s[24:25], -1, 0
	s_lshl_b64 s[28:29], s[4:5], 3
	s_add_u32 s6, s20, s28
	s_addc_u32 s7, s21, s29
	s_mov_b64 s[4:5], -1
	s_and_b64 vcc, exec, s[24:25]
	s_cbranch_vccz .LBB19_2
; %bb.1:
	v_mov_b32_e32 v27, 0
	v_lshl_add_u64 v[2:3], s[6:7], 0, v[26:27]
	v_add_co_u32_e32 v8, vcc, 0x1000, v2
	global_load_dwordx2 v[4:5], v26, s[6:7]
	global_load_dwordx2 v[6:7], v26, s[6:7] offset:2048
	v_addc_co_u32_e32 v9, vcc, 0, v3, vcc
	v_add_co_u32_e32 v2, vcc, 0x2000, v2
	s_mov_b64 s[4:5], 0
	s_nop 0
	v_addc_co_u32_e32 v3, vcc, 0, v3, vcc
	global_load_dwordx2 v[10:11], v[8:9], off
	global_load_dwordx2 v[12:13], v[8:9], off offset:2048
	global_load_dwordx2 v[14:15], v[2:3], off
	global_load_dwordx2 v[16:17], v[2:3], off offset:2048
	s_waitcnt vmcnt(4)
	ds_write2st64_b64 v26, v[4:5], v[6:7] offset1:4
	s_waitcnt vmcnt(2)
	ds_write2st64_b64 v26, v[10:11], v[12:13] offset0:8 offset1:12
	s_waitcnt vmcnt(0)
	ds_write2st64_b64 v26, v[14:15], v[16:17] offset0:16 offset1:20
	s_waitcnt lgkmcnt(0)
	s_barrier
.LBB19_2:
	s_andn2_b64 vcc, exec, s[4:5]
	v_cmp_gt_u32_e64 s[4:5], s30, v0
	s_cbranch_vccnz .LBB19_16
; %bb.3:
	s_load_dwordx2 s[8:9], s[6:7], 0x0
	v_mov_b32_e32 v27, 0
	v_lshl_add_u64 v[18:19], s[6:7], 0, v[26:27]
	s_waitcnt lgkmcnt(0)
	s_mov_b32 s10, s8
	s_mov_b32 s11, s9
	;; [unrolled: 1-line block ×10, first 2 shown]
	v_mov_b64_e32 v[2:3], s[8:9]
	v_mov_b64_e32 v[4:5], s[10:11]
	;; [unrolled: 1-line block ×8, first 2 shown]
	s_and_saveexec_b64 s[6:7], s[4:5]
	s_cbranch_execz .LBB19_5
; %bb.4:
	global_load_dwordx2 v[2:3], v[18:19], off
	v_mov_b32_e32 v4, s8
	v_mov_b32_e32 v5, s9
	;; [unrolled: 1-line block ×10, first 2 shown]
.LBB19_5:
	s_or_b64 exec, exec, s[6:7]
	v_or_b32_e32 v1, 0x100, v0
	v_cmp_gt_u32_e32 vcc, s30, v1
	s_and_saveexec_b64 s[4:5], vcc
	s_cbranch_execz .LBB19_7
; %bb.6:
	global_load_dwordx2 v[4:5], v[18:19], off offset:2048
.LBB19_7:
	s_or_b64 exec, exec, s[4:5]
	v_or_b32_e32 v1, 0x200, v0
	v_cmp_gt_u32_e32 vcc, s30, v1
	s_and_saveexec_b64 s[4:5], vcc
	s_cbranch_execz .LBB19_9
; %bb.8:
	v_add_co_u32_e32 v6, vcc, 0x1000, v18
	s_nop 1
	v_addc_co_u32_e32 v7, vcc, 0, v19, vcc
	global_load_dwordx2 v[6:7], v[6:7], off
.LBB19_9:
	s_or_b64 exec, exec, s[4:5]
	v_or_b32_e32 v1, 0x300, v0
	v_cmp_gt_u32_e32 vcc, s30, v1
	s_and_saveexec_b64 s[4:5], vcc
	s_cbranch_execz .LBB19_11
; %bb.10:
	v_add_co_u32_e32 v8, vcc, 0x1000, v18
	s_nop 1
	v_addc_co_u32_e32 v9, vcc, 0, v19, vcc
	global_load_dwordx2 v[8:9], v[8:9], off offset:2048
.LBB19_11:
	s_or_b64 exec, exec, s[4:5]
	v_or_b32_e32 v1, 0x400, v0
	v_cmp_gt_u32_e32 vcc, s30, v1
	s_and_saveexec_b64 s[4:5], vcc
	s_cbranch_execz .LBB19_13
; %bb.12:
	v_add_co_u32_e32 v10, vcc, 0x2000, v18
	s_nop 1
	v_addc_co_u32_e32 v11, vcc, 0, v19, vcc
	global_load_dwordx2 v[10:11], v[10:11], off
.LBB19_13:
	s_or_b64 exec, exec, s[4:5]
	v_or_b32_e32 v1, 0x500, v0
	v_cmp_gt_u32_e32 vcc, s30, v1
	s_and_saveexec_b64 s[4:5], vcc
	s_cbranch_execz .LBB19_15
; %bb.14:
	v_add_co_u32_e32 v12, vcc, 0x2000, v18
	s_nop 1
	v_addc_co_u32_e32 v13, vcc, 0, v19, vcc
	global_load_dwordx2 v[12:13], v[12:13], off offset:2048
.LBB19_15:
	s_or_b64 exec, exec, s[4:5]
	s_waitcnt vmcnt(0)
	ds_write2st64_b64 v26, v[2:3], v[4:5] offset1:4
	ds_write2st64_b64 v26, v[6:7], v[8:9] offset0:8 offset1:12
	ds_write2st64_b64 v26, v[10:11], v[12:13] offset0:16 offset1:20
	s_waitcnt lgkmcnt(0)
	s_barrier
.LBB19_16:
	v_mul_u32_u24_e32 v1, 48, v0
	s_load_dwordx2 s[12:13], s[0:1], 0x28
	s_waitcnt lgkmcnt(0)
	ds_read_b128 v[10:13], v1
	ds_read_b128 v[6:9], v1 offset:16
	ds_read_b128 v[2:5], v1 offset:32
	s_cmp_lg_u32 s2, 0
	v_mbcnt_lo_u32_b32 v27, -1, 0
	s_waitcnt lgkmcnt(2)
	v_lshl_add_u64 v[14:15], v[12:13], 0, v[10:11]
	s_waitcnt lgkmcnt(1)
	v_lshl_add_u64 v[28:29], v[14:15], 0, v[6:7]
	s_waitcnt lgkmcnt(0)
	s_barrier
	s_cbranch_scc0 .LBB19_40
; %bb.17:
	v_lshl_add_u64 v[14:15], v[28:29], 0, v[8:9]
	v_lshl_add_u64 v[14:15], v[14:15], 0, v[2:3]
	;; [unrolled: 1-line block ×3, first 2 shown]
	v_mov_b32_e32 v18, 0
	v_mbcnt_hi_u32_b32 v32, -1, v27
	v_mov_b32_dpp v16, v14 row_shr:1 row_mask:0xf bank_mask:0xf
	v_mov_b32_e32 v17, v18
	v_and_b32_e32 v20, 15, v32
	v_mov_b32_dpp v19, v15 row_shr:1 row_mask:0xf bank_mask:0xf
	v_lshl_add_u64 v[16:17], v[14:15], 0, v[16:17]
	v_lshl_add_u64 v[18:19], v[18:19], 0, v[16:17]
	v_cmp_eq_u32_e32 vcc, 0, v20
	v_cmp_eq_u32_e64 s[4:5], 0, v32
	v_cmp_ne_u32_e64 s[6:7], 0, v32
	v_cndmask_b32_e32 v21, v16, v14, vcc
	v_cndmask_b32_e32 v17, v19, v15, vcc
	v_cndmask_b32_e32 v16, v18, v14, vcc
	v_mov_b32_dpp v18, v21 row_shr:2 row_mask:0xf bank_mask:0xf
	v_mov_b32_dpp v19, v17 row_shr:2 row_mask:0xf bank_mask:0xf
	v_lshl_add_u64 v[18:19], v[18:19], 0, v[16:17]
	v_cmp_lt_u32_e32 vcc, 1, v20
	s_nop 1
	v_cndmask_b32_e32 v21, v21, v18, vcc
	v_cndmask_b32_e32 v17, v17, v19, vcc
	v_cndmask_b32_e32 v16, v16, v18, vcc
	v_mov_b32_dpp v18, v21 row_shr:4 row_mask:0xf bank_mask:0xf
	v_mov_b32_dpp v19, v17 row_shr:4 row_mask:0xf bank_mask:0xf
	v_lshl_add_u64 v[18:19], v[18:19], 0, v[16:17]
	v_cmp_lt_u32_e32 vcc, 3, v20
	s_nop 1
	;; [unrolled: 8-line block ×3, first 2 shown]
	v_cndmask_b32_e32 v20, v21, v18, vcc
	v_cndmask_b32_e32 v17, v17, v19, vcc
	;; [unrolled: 1-line block ×3, first 2 shown]
	v_mov_b32_dpp v18, v20 row_bcast:15 row_mask:0xf bank_mask:0xf
	v_mov_b32_dpp v19, v17 row_bcast:15 row_mask:0xf bank_mask:0xf
	v_and_b32_e32 v21, 16, v32
	v_lshl_add_u64 v[18:19], v[18:19], 0, v[16:17]
	v_cmp_eq_u32_e32 vcc, 0, v21
	s_nop 1
	v_cndmask_b32_e32 v21, v19, v17, vcc
	v_cndmask_b32_e32 v20, v18, v20, vcc
	s_nop 0
	v_mov_b32_dpp v21, v21 row_bcast:31 row_mask:0xf bank_mask:0xf
	v_mov_b32_dpp v20, v20 row_bcast:31 row_mask:0xf bank_mask:0xf
	s_and_saveexec_b64 s[8:9], s[6:7]
; %bb.18:
	v_cndmask_b32_e32 v15, v19, v17, vcc
	v_cndmask_b32_e32 v14, v18, v16, vcc
	v_cmp_lt_u32_e32 vcc, 31, v32
	s_nop 1
	v_cndmask_b32_e32 v17, 0, v21, vcc
	v_cndmask_b32_e32 v16, 0, v20, vcc
	v_lshl_add_u64 v[14:15], v[16:17], 0, v[14:15]
; %bb.19:
	s_or_b64 exec, exec, s[8:9]
	v_or_b32_e32 v17, 63, v0
	v_lshrrev_b32_e32 v16, 6, v0
	v_cmp_eq_u32_e32 vcc, v0, v17
	s_and_saveexec_b64 s[6:7], vcc
; %bb.20:
	v_lshlrev_b32_e32 v17, 3, v16
	ds_write_b64 v17, v[14:15]
; %bb.21:
	s_or_b64 exec, exec, s[6:7]
	v_cmp_gt_u32_e32 vcc, 4, v0
	s_waitcnt lgkmcnt(0)
	s_barrier
	s_and_saveexec_b64 s[6:7], vcc
	s_cbranch_execz .LBB19_23
; %bb.22:
	ds_read_b64 v[18:19], v26
	v_mov_b32_e32 v20, 0
	v_mov_b32_e32 v23, v20
	v_and_b32_e32 v17, 3, v32
	v_cmp_eq_u32_e32 vcc, 0, v17
	s_waitcnt lgkmcnt(0)
	v_mov_b32_dpp v22, v18 row_shr:1 row_mask:0xf bank_mask:0xf
	v_mov_b32_dpp v21, v19 row_shr:1 row_mask:0xf bank_mask:0xf
	v_lshl_add_u64 v[22:23], v[18:19], 0, v[22:23]
	v_lshl_add_u64 v[20:21], v[20:21], 0, v[22:23]
	v_cndmask_b32_e32 v21, v21, v19, vcc
	v_cndmask_b32_e32 v20, v20, v18, vcc
	;; [unrolled: 1-line block ×3, first 2 shown]
	v_mov_b32_dpp v19, v21 row_shr:2 row_mask:0xf bank_mask:0xf
	v_cmp_lt_u32_e32 vcc, 1, v17
	v_mov_b32_dpp v18, v18 row_shr:2 row_mask:0xf bank_mask:0xf
	s_nop 0
	v_cndmask_b32_e32 v18, 0, v18, vcc
	v_cndmask_b32_e32 v19, 0, v19, vcc
	v_lshl_add_u64 v[18:19], v[18:19], 0, v[20:21]
	ds_write_b64 v26, v[18:19]
.LBB19_23:
	s_or_b64 exec, exec, s[6:7]
	v_cmp_gt_u32_e32 vcc, 64, v0
	v_cmp_lt_u32_e64 s[6:7], 63, v0
	s_waitcnt lgkmcnt(0)
	s_barrier
                                        ; implicit-def: $vgpr22_vgpr23
	s_and_saveexec_b64 s[8:9], s[6:7]
	s_cbranch_execz .LBB19_25
; %bb.24:
	v_lshl_add_u32 v16, v16, 3, -8
	ds_read_b64 v[22:23], v16
	s_waitcnt lgkmcnt(0)
	v_lshl_add_u64 v[14:15], v[22:23], 0, v[14:15]
.LBB19_25:
	s_or_b64 exec, exec, s[8:9]
	v_add_u32_e32 v16, -1, v32
	v_and_b32_e32 v17, 64, v32
	v_cmp_lt_i32_e64 s[6:7], v16, v17
	s_nop 1
	v_cndmask_b32_e64 v16, v16, v32, s[6:7]
	v_lshlrev_b32_e32 v16, 2, v16
	ds_bpermute_b32 v35, v16, v14
	ds_bpermute_b32 v34, v16, v15
	s_and_saveexec_b64 s[14:15], vcc
	s_cbranch_execz .LBB19_45
; %bb.26:
	v_mov_b32_e32 v17, 0
	ds_read_b64 v[14:15], v17 offset:24
	s_and_saveexec_b64 s[6:7], s[4:5]
	s_cbranch_execz .LBB19_28
; %bb.27:
	s_add_i32 s8, s2, 64
	s_mov_b32 s9, 0
	s_lshl_b64 s[8:9], s[8:9], 4
	s_add_u32 s8, s12, s8
	s_addc_u32 s9, s13, s9
	v_mov_b32_e32 v16, 1
	v_mov_b64_e32 v[18:19], s[8:9]
	s_waitcnt lgkmcnt(0)
	;;#ASMSTART
	global_store_dwordx4 v[18:19], v[14:17] off sc1	
s_waitcnt vmcnt(0)
	;;#ASMEND
.LBB19_28:
	s_or_b64 exec, exec, s[6:7]
	v_xad_u32 v24, v32, -1, s2
	v_add_u32_e32 v16, 64, v24
	v_lshl_add_u64 v[30:31], v[16:17], 4, s[12:13]
	;;#ASMSTART
	global_load_dwordx4 v[18:21], v[30:31] off sc1	
s_waitcnt vmcnt(0)
	;;#ASMEND
	s_nop 0
	v_cmp_eq_u16_sdwa s[8:9], v20, v17 src0_sel:BYTE_0 src1_sel:DWORD
	s_and_saveexec_b64 s[6:7], s[8:9]
	s_cbranch_execz .LBB19_32
; %bb.29:
	s_mov_b64 s[8:9], 0
	v_mov_b32_e32 v16, 0
.LBB19_30:                              ; =>This Inner Loop Header: Depth=1
	;;#ASMSTART
	global_load_dwordx4 v[18:21], v[30:31] off sc1	
s_waitcnt vmcnt(0)
	;;#ASMEND
	s_nop 0
	v_cmp_ne_u16_sdwa s[10:11], v20, v16 src0_sel:BYTE_0 src1_sel:DWORD
	s_or_b64 s[8:9], s[10:11], s[8:9]
	s_andn2_b64 exec, exec, s[8:9]
	s_cbranch_execnz .LBB19_30
; %bb.31:
	s_or_b64 exec, exec, s[8:9]
.LBB19_32:
	s_or_b64 exec, exec, s[6:7]
	v_mov_b32_e32 v36, 2
	v_cmp_eq_u16_sdwa s[6:7], v20, v36 src0_sel:BYTE_0 src1_sel:DWORD
	v_lshlrev_b64 v[16:17], v32, -1
	v_and_b32_e32 v33, 63, v32
	v_and_b32_e32 v21, s7, v17
	v_or_b32_e32 v21, 0x80000000, v21
	v_and_b32_e32 v25, s6, v16
	v_ffbl_b32_e32 v21, v21
	v_add_u32_e32 v21, 32, v21
	v_ffbl_b32_e32 v25, v25
	v_cmp_ne_u32_e32 vcc, 63, v33
	v_min_u32_e32 v21, v25, v21
	v_add_u32_e32 v38, 1, v32
	v_addc_co_u32_e32 v25, vcc, 0, v32, vcc
	v_lshlrev_b32_e32 v37, 2, v25
	ds_bpermute_b32 v30, v37, v18
	ds_bpermute_b32 v41, v37, v19
	v_mov_b32_e32 v25, 0
	v_mov_b32_e32 v31, v25
	;; [unrolled: 1-line block ×3, first 2 shown]
	s_waitcnt lgkmcnt(1)
	v_lshl_add_u64 v[30:31], v[18:19], 0, v[30:31]
	v_cmp_le_u32_e32 vcc, v38, v21
	v_cmp_gt_u32_e64 s[6:7], 62, v33
	s_waitcnt lgkmcnt(0)
	v_lshl_add_u64 v[40:41], v[40:41], 0, v[30:31]
	v_cndmask_b32_e32 v44, v18, v30, vcc
	v_cndmask_b32_e64 v30, 0, 2, s[6:7]
	v_cndmask_b32_e32 v31, v19, v41, vcc
	v_add_lshl_u32 v39, v30, v32, 2
	ds_bpermute_b32 v42, v39, v44
	ds_bpermute_b32 v43, v39, v31
	v_cndmask_b32_e32 v30, v18, v40, vcc
	v_add_u32_e32 v40, 2, v32
	v_cmp_gt_u32_e64 s[8:9], 60, v33
	v_cmp_le_u32_e64 s[6:7], v40, v21
	s_waitcnt lgkmcnt(0)
	v_lshl_add_u64 v[42:43], v[42:43], 0, v[30:31]
	v_cndmask_b32_e64 v41, 0, 4, s[8:9]
	v_cndmask_b32_e64 v46, v44, v42, s[6:7]
	;; [unrolled: 1-line block ×3, first 2 shown]
	v_add_lshl_u32 v41, v41, v32, 2
	ds_bpermute_b32 v44, v41, v46
	ds_bpermute_b32 v45, v41, v31
	v_cndmask_b32_e64 v30, v30, v42, s[6:7]
	v_add_u32_e32 v42, 4, v32
	v_cmp_gt_u32_e64 s[10:11], 56, v33
	v_cmp_le_u32_e64 s[8:9], v42, v21
	s_waitcnt lgkmcnt(0)
	v_lshl_add_u64 v[44:45], v[44:45], 0, v[30:31]
	v_cndmask_b32_e64 v43, 0, 8, s[10:11]
	v_cndmask_b32_e64 v48, v46, v44, s[8:9]
	;; [unrolled: 1-line block ×3, first 2 shown]
	v_add_lshl_u32 v43, v43, v32, 2
	ds_bpermute_b32 v46, v43, v48
	ds_bpermute_b32 v47, v43, v31
	s_or_b64 s[10:11], vcc, s[6:7]
	v_cndmask_b32_e64 v30, v30, v44, s[8:9]
	v_add_u32_e32 v44, 8, v32
	v_cmp_gt_u32_e64 s[6:7], 48, v33
	s_waitcnt lgkmcnt(0)
	v_lshl_add_u64 v[46:47], v[46:47], 0, v[30:31]
	v_cmp_le_u32_e32 vcc, v44, v21
	v_cndmask_b32_e64 v33, 0, 16, s[6:7]
	v_add_lshl_u32 v45, v33, v32, 2
	v_cndmask_b32_e32 v52, v48, v46, vcc
	v_cndmask_b32_e32 v31, v31, v47, vcc
	ds_bpermute_b32 v48, v45, v52
	ds_bpermute_b32 v49, v45, v31
	s_or_b64 s[6:7], s[8:9], s[10:11]
	v_cndmask_b32_e32 v30, v30, v46, vcc
	v_add_u32_e32 v46, 16, v32
	s_or_b64 s[6:7], vcc, s[6:7]
	s_waitcnt lgkmcnt(0)
	v_lshl_add_u64 v[50:51], v[48:49], 0, v[30:31]
	v_cmp_le_u32_e32 vcc, v46, v21
	v_mov_b32_e32 v47, 0x80
	v_lshl_or_b32 v47, v32, 2, v47
	v_cndmask_b32_e32 v33, v52, v50, vcc
	v_cndmask_b32_e32 v31, v31, v51, vcc
	ds_bpermute_b32 v49, v47, v31
	ds_bpermute_b32 v51, v47, v33
	v_add_u32_e32 v48, 32, v32
	s_or_b64 s[6:7], vcc, s[6:7]
	v_cndmask_b32_e32 v30, v30, v50, vcc
	v_cmp_le_u32_e32 vcc, v48, v21
	s_waitcnt lgkmcnt(1)
	s_nop 0
	v_cndmask_b32_e32 v33, 0, v49, vcc
	s_waitcnt lgkmcnt(0)
	v_cndmask_b32_e32 v32, 0, v51, vcc
	v_lshl_add_u64 v[30:31], v[32:33], 0, v[30:31]
	s_or_b64 vcc, vcc, s[6:7]
	v_cndmask_b32_e32 v19, v19, v31, vcc
	v_cndmask_b32_e32 v18, v18, v30, vcc
	s_branch .LBB19_36
.LBB19_33:                              ;   in Loop: Header=BB19_36 Depth=1
	s_or_b64 exec, exec, s[8:9]
.LBB19_34:                              ;   in Loop: Header=BB19_36 Depth=1
	s_or_b64 exec, exec, s[6:7]
	v_cmp_eq_u16_sdwa s[6:7], v20, v36 src0_sel:BYTE_0 src1_sel:DWORD
	v_subrev_u32_e32 v21, 64, v24
	ds_bpermute_b32 v33, v37, v19
	v_and_b32_e32 v24, s7, v17
	v_or_b32_e32 v24, 0x80000000, v24
	v_ffbl_b32_e32 v24, v24
	v_add_u32_e32 v49, 32, v24
	ds_bpermute_b32 v24, v37, v18
	v_and_b32_e32 v32, s6, v16
	v_ffbl_b32_e32 v32, v32
	v_min_u32_e32 v49, v32, v49
	v_mov_b32_e32 v32, v25
	s_waitcnt lgkmcnt(0)
	v_lshl_add_u64 v[50:51], v[18:19], 0, v[24:25]
	v_lshl_add_u64 v[32:33], v[32:33], 0, v[50:51]
	v_cmp_le_u32_e32 vcc, v38, v49
	v_cmp_le_u32_e64 s[6:7], v40, v49
	v_cmp_le_u32_e64 s[8:9], v42, v49
	v_cndmask_b32_e32 v24, v18, v50, vcc
	v_cndmask_b32_e32 v33, v19, v33, vcc
	ds_bpermute_b32 v50, v39, v24
	ds_bpermute_b32 v51, v39, v33
	v_cndmask_b32_e32 v32, v18, v32, vcc
	v_cmp_le_u32_e64 s[10:11], v44, v49
	s_waitcnt lgkmcnt(0)
	v_lshl_add_u64 v[50:51], v[50:51], 0, v[32:33]
	v_cndmask_b32_e64 v24, v24, v50, s[6:7]
	v_cndmask_b32_e64 v33, v33, v51, s[6:7]
	ds_bpermute_b32 v52, v41, v24
	ds_bpermute_b32 v53, v41, v33
	v_cndmask_b32_e64 v32, v32, v50, s[6:7]
	s_or_b64 s[6:7], vcc, s[6:7]
	v_cmp_le_u32_e32 vcc, v46, v49
	s_or_b64 s[6:7], s[8:9], s[6:7]
	s_waitcnt lgkmcnt(0)
	v_lshl_add_u64 v[50:51], v[52:53], 0, v[32:33]
	v_cndmask_b32_e64 v24, v24, v50, s[8:9]
	v_cndmask_b32_e64 v33, v33, v51, s[8:9]
	ds_bpermute_b32 v52, v43, v24
	ds_bpermute_b32 v53, v43, v33
	v_cndmask_b32_e64 v32, v32, v50, s[8:9]
	s_or_b64 s[6:7], s[10:11], s[6:7]
	s_or_b64 s[6:7], vcc, s[6:7]
	s_waitcnt lgkmcnt(0)
	v_lshl_add_u64 v[50:51], v[52:53], 0, v[32:33]
	v_cndmask_b32_e64 v24, v24, v50, s[10:11]
	v_cndmask_b32_e64 v33, v33, v51, s[10:11]
	ds_bpermute_b32 v52, v45, v24
	ds_bpermute_b32 v53, v45, v33
	v_cndmask_b32_e64 v32, v32, v50, s[10:11]
	s_waitcnt lgkmcnt(0)
	v_lshl_add_u64 v[50:51], v[52:53], 0, v[32:33]
	v_cndmask_b32_e32 v24, v24, v50, vcc
	v_cndmask_b32_e32 v33, v33, v51, vcc
	ds_bpermute_b32 v51, v47, v33
	ds_bpermute_b32 v24, v47, v24
	v_cndmask_b32_e32 v32, v32, v50, vcc
	v_cmp_le_u32_e32 vcc, v48, v49
	s_waitcnt lgkmcnt(1)
	s_nop 0
	v_cndmask_b32_e32 v51, 0, v51, vcc
	s_waitcnt lgkmcnt(0)
	v_cndmask_b32_e32 v50, 0, v24, vcc
	v_lshl_add_u64 v[32:33], v[50:51], 0, v[32:33]
	s_or_b64 vcc, vcc, s[6:7]
	v_cndmask_b32_e32 v19, v19, v33, vcc
	v_cndmask_b32_e32 v18, v18, v32, vcc
	v_lshl_add_u64 v[18:19], v[18:19], 0, v[30:31]
	s_mov_b64 s[6:7], 0
	v_mov_b32_e32 v24, v21
.LBB19_35:                              ;   in Loop: Header=BB19_36 Depth=1
	s_and_b64 vcc, exec, s[6:7]
	s_cbranch_vccnz .LBB19_41
.LBB19_36:                              ; =>This Loop Header: Depth=1
                                        ;     Child Loop BB19_39 Depth 2
	v_cmp_ne_u16_sdwa s[6:7], v20, v36 src0_sel:BYTE_0 src1_sel:DWORD
	v_mov_b64_e32 v[30:31], v[18:19]
	s_cmp_lg_u64 s[6:7], exec
	s_mov_b64 s[6:7], -1
                                        ; implicit-def: $vgpr18_vgpr19
                                        ; implicit-def: $vgpr20
	s_cbranch_scc1 .LBB19_35
; %bb.37:                               ;   in Loop: Header=BB19_36 Depth=1
	v_lshl_add_u64 v[32:33], v[24:25], 4, s[12:13]
	;;#ASMSTART
	global_load_dwordx4 v[18:21], v[32:33] off sc1	
s_waitcnt vmcnt(0)
	;;#ASMEND
	s_nop 0
	v_cmp_eq_u16_sdwa s[8:9], v20, v25 src0_sel:BYTE_0 src1_sel:DWORD
	s_and_saveexec_b64 s[6:7], s[8:9]
	s_cbranch_execz .LBB19_34
; %bb.38:                               ;   in Loop: Header=BB19_36 Depth=1
	s_mov_b64 s[8:9], 0
.LBB19_39:                              ;   Parent Loop BB19_36 Depth=1
                                        ; =>  This Inner Loop Header: Depth=2
	;;#ASMSTART
	global_load_dwordx4 v[18:21], v[32:33] off sc1	
s_waitcnt vmcnt(0)
	;;#ASMEND
	s_nop 0
	v_cmp_ne_u16_sdwa s[10:11], v20, v25 src0_sel:BYTE_0 src1_sel:DWORD
	s_or_b64 s[8:9], s[10:11], s[8:9]
	s_andn2_b64 exec, exec, s[8:9]
	s_cbranch_execnz .LBB19_39
	s_branch .LBB19_33
.LBB19_40:
                                        ; implicit-def: $vgpr16_vgpr17
                                        ; implicit-def: $vgpr20_vgpr21
                                        ; implicit-def: $vgpr24_vgpr25
	s_load_dwordx4 s[4:7], s[0:1], 0x38
	s_cbranch_execnz .LBB19_46
	s_branch .LBB19_59
.LBB19_41:
	s_and_saveexec_b64 s[6:7], s[4:5]
	s_cbranch_execz .LBB19_43
; %bb.42:
	s_add_i32 s2, s2, 64
	s_mov_b32 s3, 0
	s_lshl_b64 s[2:3], s[2:3], 4
	s_add_u32 s2, s12, s2
	s_addc_u32 s3, s13, s3
	v_lshl_add_u64 v[14:15], v[30:31], 0, v[14:15]
	v_mov_b32_e32 v16, 2
	v_mov_b32_e32 v17, 0
	v_mov_b64_e32 v[18:19], s[2:3]
	;;#ASMSTART
	global_store_dwordx4 v[18:19], v[14:17] off sc1	
s_waitcnt vmcnt(0)
	;;#ASMEND
.LBB19_43:
	s_or_b64 exec, exec, s[6:7]
	v_cmp_eq_u32_e32 vcc, 0, v0
	s_and_b64 exec, exec, vcc
; %bb.44:
	v_mov_b32_e32 v14, 0
	ds_write_b64 v14, v[30:31] offset:24
.LBB19_45:
	s_or_b64 exec, exec, s[14:15]
	v_mov_b32_e32 v14, 0
	s_waitcnt lgkmcnt(0)
	s_barrier
	ds_read_b64 v[14:15], v14 offset:24
	v_cndmask_b32_e64 v16, v35, v22, s[4:5]
	v_cndmask_b32_e64 v17, v34, v23, s[4:5]
	v_cmp_ne_u32_e32 vcc, 0, v0
	s_nop 1
	v_cndmask_b32_e32 v17, 0, v17, vcc
	v_cndmask_b32_e32 v16, 0, v16, vcc
	s_waitcnt lgkmcnt(0)
	v_lshl_add_u64 v[22:23], v[14:15], 0, v[16:17]
	v_lshl_add_u64 v[24:25], v[22:23], 0, v[10:11]
	;; [unrolled: 1-line block ×6, first 2 shown]
	s_load_dwordx4 s[4:7], s[0:1], 0x38
	s_branch .LBB19_59
.LBB19_46:
	s_load_dword s2, s[0:1], 0x48
	v_mov_b64_e32 v[16:17], s[26:27]
	s_waitcnt lgkmcnt(0)
	s_bitcmp0_b32 s2, 0
	s_cbranch_scc1 .LBB19_48
; %bb.47:
	v_mov_b32_e32 v18, 0
	global_load_dwordx2 v[14:15], v18, s[4:5]
	global_load_dwordx2 v[16:17], v18, s[20:21] offset:-8
	s_waitcnt vmcnt(0)
	v_lshl_add_u64 v[16:17], v[16:17], 0, v[14:15]
.LBB19_48:
	v_lshl_add_u64 v[14:15], v[28:29], 0, v[8:9]
	v_lshl_add_u64 v[14:15], v[14:15], 0, v[2:3]
	;; [unrolled: 1-line block ×3, first 2 shown]
	v_mov_b32_e32 v18, 0
	v_mbcnt_hi_u32_b32 v20, -1, v27
	v_mov_b32_dpp v14, v4 row_shr:1 row_mask:0xf bank_mask:0xf
	v_mov_b32_e32 v15, v18
	v_and_b32_e32 v21, 15, v20
	v_mov_b32_dpp v19, v5 row_shr:1 row_mask:0xf bank_mask:0xf
	v_lshl_add_u64 v[14:15], v[4:5], 0, v[14:15]
	v_lshl_add_u64 v[18:19], v[18:19], 0, v[14:15]
	v_cmp_eq_u32_e32 vcc, 0, v21
	v_cmp_ne_u32_e64 s[4:5], 0, v20
	s_nop 0
	v_cndmask_b32_e32 v22, v14, v4, vcc
	v_cndmask_b32_e32 v15, v19, v5, vcc
	v_cndmask_b32_e32 v14, v18, v4, vcc
	v_mov_b32_dpp v18, v22 row_shr:2 row_mask:0xf bank_mask:0xf
	v_mov_b32_dpp v19, v15 row_shr:2 row_mask:0xf bank_mask:0xf
	v_lshl_add_u64 v[18:19], v[18:19], 0, v[14:15]
	v_cmp_lt_u32_e32 vcc, 1, v21
	s_nop 1
	v_cndmask_b32_e32 v22, v22, v18, vcc
	v_cndmask_b32_e32 v15, v15, v19, vcc
	v_cndmask_b32_e32 v14, v14, v18, vcc
	v_mov_b32_dpp v18, v22 row_shr:4 row_mask:0xf bank_mask:0xf
	v_mov_b32_dpp v19, v15 row_shr:4 row_mask:0xf bank_mask:0xf
	v_lshl_add_u64 v[18:19], v[18:19], 0, v[14:15]
	v_cmp_lt_u32_e32 vcc, 3, v21
	;; [unrolled: 8-line block ×3, first 2 shown]
	s_nop 1
	v_cndmask_b32_e32 v21, v22, v18, vcc
	v_cndmask_b32_e32 v15, v15, v19, vcc
	;; [unrolled: 1-line block ×3, first 2 shown]
	v_mov_b32_dpp v18, v21 row_bcast:15 row_mask:0xf bank_mask:0xf
	v_mov_b32_dpp v19, v15 row_bcast:15 row_mask:0xf bank_mask:0xf
	v_and_b32_e32 v22, 16, v20
	v_lshl_add_u64 v[18:19], v[18:19], 0, v[14:15]
	v_cmp_eq_u32_e64 s[2:3], 0, v22
	v_cmp_eq_u32_e32 vcc, 0, v20
	s_nop 0
	v_cndmask_b32_e64 v22, v19, v15, s[2:3]
	v_cndmask_b32_e64 v21, v18, v21, s[2:3]
	s_nop 0
	v_mov_b32_dpp v22, v22 row_bcast:31 row_mask:0xf bank_mask:0xf
	v_mov_b32_dpp v21, v21 row_bcast:31 row_mask:0xf bank_mask:0xf
	s_and_saveexec_b64 s[8:9], s[4:5]
; %bb.49:
	v_cndmask_b32_e64 v5, v19, v15, s[2:3]
	v_cndmask_b32_e64 v4, v18, v14, s[2:3]
	v_cmp_lt_u32_e64 s[2:3], 31, v20
	s_nop 1
	v_cndmask_b32_e64 v15, 0, v22, s[2:3]
	v_cndmask_b32_e64 v14, 0, v21, s[2:3]
	v_lshl_add_u64 v[4:5], v[14:15], 0, v[4:5]
; %bb.50:
	s_or_b64 exec, exec, s[8:9]
	v_or_b32_e32 v14, 63, v0
	v_lshrrev_b32_e32 v18, 6, v0
	v_cmp_eq_u32_e64 s[2:3], v0, v14
	s_and_saveexec_b64 s[4:5], s[2:3]
; %bb.51:
	v_lshlrev_b32_e32 v14, 3, v18
	ds_write_b64 v14, v[4:5]
; %bb.52:
	s_or_b64 exec, exec, s[4:5]
	v_cmp_gt_u32_e64 s[2:3], 4, v0
	s_waitcnt lgkmcnt(0)
	s_barrier
	s_and_saveexec_b64 s[4:5], s[2:3]
	s_cbranch_execz .LBB19_54
; %bb.53:
	s_movk_i32 s2, 0xffd8
	v_mad_i32_i24 v19, v0, s2, v1
	ds_read_b64 v[14:15], v19
	v_mov_b32_e32 v22, 0
	v_mov_b32_e32 v25, v22
	v_and_b32_e32 v21, 3, v20
	v_cmp_eq_u32_e64 s[2:3], 0, v21
	s_waitcnt lgkmcnt(0)
	v_mov_b32_dpp v24, v14 row_shr:1 row_mask:0xf bank_mask:0xf
	v_mov_b32_dpp v23, v15 row_shr:1 row_mask:0xf bank_mask:0xf
	v_lshl_add_u64 v[24:25], v[14:15], 0, v[24:25]
	v_lshl_add_u64 v[22:23], v[22:23], 0, v[24:25]
	v_cndmask_b32_e64 v23, v23, v15, s[2:3]
	v_cndmask_b32_e64 v22, v22, v14, s[2:3]
	;; [unrolled: 1-line block ×3, first 2 shown]
	v_mov_b32_dpp v15, v23 row_shr:2 row_mask:0xf bank_mask:0xf
	v_cmp_lt_u32_e64 s[2:3], 1, v21
	v_mov_b32_dpp v14, v14 row_shr:2 row_mask:0xf bank_mask:0xf
	s_nop 0
	v_cndmask_b32_e64 v14, 0, v14, s[2:3]
	v_cndmask_b32_e64 v15, 0, v15, s[2:3]
	v_lshl_add_u64 v[14:15], v[14:15], 0, v[22:23]
	ds_write_b64 v19, v[14:15]
.LBB19_54:
	s_or_b64 exec, exec, s[4:5]
	v_cmp_lt_u32_e64 s[2:3], 63, v0
	v_mov_b64_e32 v[14:15], v[16:17]
	s_waitcnt lgkmcnt(0)
	s_barrier
	s_and_saveexec_b64 s[4:5], s[2:3]
	s_cbranch_execz .LBB19_56
; %bb.55:
	v_lshl_add_u32 v14, v18, 3, -8
	ds_read_b64 v[14:15], v14
	s_waitcnt lgkmcnt(0)
	v_lshl_add_u64 v[14:15], v[14:15], 0, v[16:17]
.LBB19_56:
	s_or_b64 exec, exec, s[4:5]
	v_add_u32_e32 v18, -1, v20
	v_and_b32_e32 v19, 64, v20
	v_cmp_lt_i32_e64 s[2:3], v18, v19
	v_lshl_add_u64 v[4:5], v[14:15], 0, v[4:5]
	s_nop 0
	v_cndmask_b32_e64 v18, v18, v20, s[2:3]
	v_lshlrev_b32_e32 v18, 2, v18
	ds_bpermute_b32 v4, v18, v4
	ds_bpermute_b32 v5, v18, v5
	s_waitcnt lgkmcnt(1)
	v_cndmask_b32_e32 v4, v4, v14, vcc
	s_waitcnt lgkmcnt(0)
	v_cndmask_b32_e32 v5, v5, v15, vcc
	v_cmp_eq_u32_e32 vcc, 0, v0
	s_nop 1
	v_cndmask_b32_e32 v23, v5, v17, vcc
	v_cndmask_b32_e32 v22, v4, v16, vcc
	v_lshl_add_u64 v[24:25], v[22:23], 0, v[10:11]
	v_lshl_add_u64 v[18:19], v[24:25], 0, v[12:13]
	;; [unrolled: 1-line block ×4, first 2 shown]
	s_and_saveexec_b64 s[2:3], vcc
	s_cbranch_execz .LBB19_58
; %bb.57:
	v_mov_b32_e32 v7, 0
	ds_read_b64 v[4:5], v7 offset:24
	s_add_u32 s4, s12, 0x400
	s_addc_u32 s5, s13, 0
	v_mov_b32_e32 v6, 2
	v_mov_b64_e32 v[8:9], s[4:5]
	s_waitcnt lgkmcnt(0)
	v_lshl_add_u64 v[4:5], v[4:5], 0, v[16:17]
	;;#ASMSTART
	global_store_dwordx4 v[8:9], v[4:7] off sc1	
s_waitcnt vmcnt(0)
	;;#ASMEND
.LBB19_58:
	s_or_b64 exec, exec, s[2:3]
	v_lshl_add_u64 v[16:17], v[14:15], 0, v[2:3]
.LBB19_59:
	s_add_u32 s2, s22, s28
	s_addc_u32 s3, s23, s29
	s_waitcnt lgkmcnt(0)
	s_mov_b64 s[4:5], -1
	s_and_b64 vcc, exec, s[24:25]
	s_barrier
	s_cbranch_vccz .LBB19_61
; %bb.60:
	ds_write_b128 v1, v[22:25]
	ds_write_b128 v1, v[18:21] offset:16
	ds_write_b128 v1, v[14:17] offset:32
	s_waitcnt lgkmcnt(0)
	s_barrier
	ds_read2st64_b64 v[2:5], v26 offset1:4
	ds_read2st64_b64 v[6:9], v26 offset0:8 offset1:12
	ds_read2st64_b64 v[10:13], v26 offset0:16 offset1:20
	v_mov_b32_e32 v27, 0
	v_lshl_add_u64 v[28:29], s[2:3], 0, v[26:27]
	s_waitcnt lgkmcnt(2)
	global_store_dwordx2 v26, v[2:3], s[2:3]
	global_store_dwordx2 v26, v[4:5], s[2:3] offset:2048
	v_add_co_u32_e32 v2, vcc, 0x1000, v28
	s_mov_b64 s[4:5], 0
	s_nop 0
	v_addc_co_u32_e32 v3, vcc, 0, v29, vcc
	s_waitcnt lgkmcnt(1)
	global_store_dwordx2 v[2:3], v[6:7], off
	global_store_dwordx2 v[2:3], v[8:9], off offset:2048
	v_add_co_u32_e32 v2, vcc, 0x2000, v28
	s_nop 1
	v_addc_co_u32_e32 v3, vcc, 0, v29, vcc
	s_waitcnt lgkmcnt(0)
	global_store_dwordx2 v[2:3], v[10:11], off
	global_store_dwordx2 v[2:3], v[12:13], off offset:2048
.LBB19_61:
	s_andn2_b64 vcc, exec, s[4:5]
	s_cbranch_vccnz .LBB19_94
; %bb.62:
	ds_write_b128 v1, v[22:25]
	ds_write_b128 v1, v[18:21] offset:16
	ds_write_b128 v1, v[14:17] offset:32
	s_waitcnt lgkmcnt(0)
	s_barrier
	ds_read2st64_b64 v[4:7], v26 offset1:4
	ds_read2st64_b64 v[8:11], v26 offset0:8 offset1:12
	ds_read2st64_b64 v[12:15], v26 offset0:16 offset1:20
	v_mov_b32_e32 v27, 0
	v_lshl_add_u64 v[2:3], s[2:3], 0, v[26:27]
	v_cmp_gt_u32_e32 vcc, s30, v0
	s_and_saveexec_b64 s[2:3], vcc
	s_cbranch_execz .LBB19_64
; %bb.63:
	s_waitcnt lgkmcnt(2)
	global_store_dwordx2 v[2:3], v[4:5], off
.LBB19_64:
	s_or_b64 exec, exec, s[2:3]
	v_or_b32_e32 v1, 0x100, v0
	v_cmp_gt_u32_e32 vcc, s30, v1
	s_and_saveexec_b64 s[2:3], vcc
	s_cbranch_execz .LBB19_66
; %bb.65:
	s_waitcnt lgkmcnt(2)
	global_store_dwordx2 v[2:3], v[6:7], off offset:2048
.LBB19_66:
	s_or_b64 exec, exec, s[2:3]
	v_or_b32_e32 v1, 0x200, v0
	v_cmp_gt_u32_e32 vcc, s30, v1
	s_and_saveexec_b64 s[2:3], vcc
	s_cbranch_execz .LBB19_68
; %bb.67:
	v_add_co_u32_e32 v16, vcc, 0x1000, v2
	s_nop 1
	v_addc_co_u32_e32 v17, vcc, 0, v3, vcc
	s_waitcnt lgkmcnt(1)
	global_store_dwordx2 v[16:17], v[8:9], off
.LBB19_68:
	s_or_b64 exec, exec, s[2:3]
	v_or_b32_e32 v1, 0x300, v0
	v_cmp_gt_u32_e32 vcc, s30, v1
	s_and_saveexec_b64 s[2:3], vcc
	s_cbranch_execz .LBB19_70
; %bb.69:
	v_add_co_u32_e32 v16, vcc, 0x1000, v2
	s_nop 1
	v_addc_co_u32_e32 v17, vcc, 0, v3, vcc
	s_waitcnt lgkmcnt(1)
	global_store_dwordx2 v[16:17], v[10:11], off offset:2048
.LBB19_70:
	s_or_b64 exec, exec, s[2:3]
	v_or_b32_e32 v1, 0x400, v0
	v_cmp_gt_u32_e32 vcc, s30, v1
	s_and_saveexec_b64 s[2:3], vcc
	s_cbranch_execz .LBB19_72
; %bb.71:
	v_add_co_u32_e32 v16, vcc, 0x2000, v2
	s_nop 1
	v_addc_co_u32_e32 v17, vcc, 0, v3, vcc
	s_waitcnt lgkmcnt(0)
	global_store_dwordx2 v[16:17], v[12:13], off
.LBB19_72:
	s_or_b64 exec, exec, s[2:3]
	v_or_b32_e32 v1, 0x500, v0
	v_cmp_gt_u32_e32 vcc, s30, v1
	s_and_saveexec_b64 s[2:3], vcc
	s_cbranch_execz .LBB19_74
; %bb.73:
	v_add_co_u32_e32 v2, vcc, 0x2000, v2
	s_nop 1
	v_addc_co_u32_e32 v3, vcc, 0, v3, vcc
	s_waitcnt lgkmcnt(0)
	global_store_dwordx2 v[2:3], v[14:15], off offset:2048
.LBB19_74:
	s_or_b64 exec, exec, s[2:3]
	s_load_dword s0, s[0:1], 0x48
	s_waitcnt lgkmcnt(0)
	s_bfe_u32 s0, s0, 0x10008
	s_cmp_eq_u32 s0, 0
	s_cbranch_scc1 .LBB19_94
; %bb.75:
	s_add_u32 s0, s30, -1
	s_addc_u32 s1, s31, -1
	s_mul_i32 s5, s1, 0xaaaaaaab
	s_mul_hi_u32 s8, s0, 0xaaaaaaab
	s_mul_hi_u32 s4, s1, 0xaaaaaaab
	s_add_u32 s5, s5, s8
	s_mul_i32 s3, s0, 0xaaaaaaaa
	s_addc_u32 s4, s4, 0
	s_mul_hi_u32 s2, s0, 0xaaaaaaaa
	s_add_u32 s3, s3, s5
	s_addc_u32 s2, s2, 0
	s_add_u32 s2, s4, s2
	s_addc_u32 s3, 0, 0
	s_mul_i32 s5, s1, 0xaaaaaaaa
	s_mul_hi_u32 s4, s1, 0xaaaaaaaa
	s_add_u32 s2, s5, s2
	s_addc_u32 s3, s4, s3
	v_mov_b32_e32 v1, v27
	s_lshr_b64 s[2:3], s[2:3], 2
	v_cmp_eq_u64_e32 vcc, s[2:3], v[0:1]
	s_and_saveexec_b64 s[2:3], vcc
	s_cbranch_execz .LBB19_94
; %bb.76:
	v_mul_hi_u32_u24_e32 v1, 6, v0
	v_mul_u32_u24_e32 v0, 6, v0
	v_mov_b32_e32 v2, s1
	v_sub_co_u32_e32 v0, vcc, s0, v0
	s_nop 1
	v_subb_co_u32_e32 v1, vcc, v2, v1, vcc
	v_cmp_lt_i64_e32 vcc, 2, v[0:1]
	s_and_saveexec_b64 s[0:1], vcc
	s_xor_b64 s[0:1], exec, s[0:1]
	s_cbranch_execz .LBB19_86
; %bb.77:
	v_cmp_lt_i64_e32 vcc, 3, v[0:1]
	s_and_saveexec_b64 s[2:3], vcc
	s_xor_b64 s[2:3], exec, s[2:3]
	s_cbranch_execz .LBB19_83
; %bb.78:
	;; [unrolled: 5-line block ×3, first 2 shown]
	v_mov_b32_e32 v0, 0
	global_store_dwordx2 v0, v[14:15], s[6:7]
                                        ; implicit-def: $vgpr12_vgpr13_vgpr14_vgpr15
.LBB19_80:
	s_andn2_saveexec_b64 s[4:5], s[4:5]
	s_cbranch_execz .LBB19_82
; %bb.81:
	v_mov_b32_e32 v0, 0
	global_store_dwordx2 v0, v[12:13], s[6:7]
.LBB19_82:
	s_or_b64 exec, exec, s[4:5]
                                        ; implicit-def: $vgpr8_vgpr9_vgpr10_vgpr11
.LBB19_83:
	s_andn2_saveexec_b64 s[2:3], s[2:3]
	s_cbranch_execz .LBB19_85
; %bb.84:
	v_mov_b32_e32 v0, 0
	global_store_dwordx2 v0, v[10:11], s[6:7]
.LBB19_85:
	s_or_b64 exec, exec, s[2:3]
                                        ; implicit-def: $vgpr0_vgpr1
                                        ; implicit-def: $vgpr8_vgpr9_vgpr10_vgpr11
                                        ; implicit-def: $vgpr4_vgpr5_vgpr6_vgpr7
.LBB19_86:
	s_andn2_saveexec_b64 s[0:1], s[0:1]
	s_cbranch_execz .LBB19_94
; %bb.87:
	v_cmp_lt_i64_e32 vcc, 1, v[0:1]
	s_and_saveexec_b64 s[0:1], vcc
	s_xor_b64 s[0:1], exec, s[0:1]
	s_cbranch_execz .LBB19_89
; %bb.88:
	v_mov_b32_e32 v0, 0
	global_store_dwordx2 v0, v[8:9], s[6:7]
                                        ; implicit-def: $vgpr4_vgpr5_vgpr6_vgpr7
                                        ; implicit-def: $vgpr0_vgpr1
.LBB19_89:
	s_andn2_saveexec_b64 s[0:1], s[0:1]
	s_cbranch_execz .LBB19_94
; %bb.90:
	v_cmp_ne_u64_e32 vcc, 1, v[0:1]
	s_and_saveexec_b64 s[0:1], vcc
	s_xor_b64 s[0:1], exec, s[0:1]
	s_cbranch_execz .LBB19_92
; %bb.91:
	v_mov_b32_e32 v0, 0
	global_store_dwordx2 v0, v[4:5], s[6:7]
                                        ; implicit-def: $vgpr4_vgpr5_vgpr6_vgpr7
.LBB19_92:
	s_andn2_saveexec_b64 s[0:1], s[0:1]
	s_cbranch_execz .LBB19_94
; %bb.93:
	v_mov_b32_e32 v0, 0
	global_store_dwordx2 v0, v[6:7], s[6:7]
.LBB19_94:
	s_endpgm
	.section	.rodata,"a",@progbits
	.p2align	6, 0x0
	.amdhsa_kernel _ZN7rocprim17ROCPRIM_304000_NS6detail20lookback_scan_kernelILNS1_25lookback_scan_determinismE0ELb1ENS1_19wrapped_scan_configINS0_14default_configElEEPKlPlN2at4cuda3cub12_GLOBAL__N_15SumOpIlEEllNS1_19lookback_scan_stateIlLb0ELb1EEEEEvT2_T3_mT5_T4_T7_jPT6_SO_bb
		.amdhsa_group_segment_fixed_size 12288
		.amdhsa_private_segment_fixed_size 0
		.amdhsa_kernarg_size 76
		.amdhsa_user_sgpr_count 2
		.amdhsa_user_sgpr_dispatch_ptr 0
		.amdhsa_user_sgpr_queue_ptr 0
		.amdhsa_user_sgpr_kernarg_segment_ptr 1
		.amdhsa_user_sgpr_dispatch_id 0
		.amdhsa_user_sgpr_kernarg_preload_length 0
		.amdhsa_user_sgpr_kernarg_preload_offset 0
		.amdhsa_user_sgpr_private_segment_size 0
		.amdhsa_uses_dynamic_stack 0
		.amdhsa_enable_private_segment 0
		.amdhsa_system_sgpr_workgroup_id_x 1
		.amdhsa_system_sgpr_workgroup_id_y 0
		.amdhsa_system_sgpr_workgroup_id_z 0
		.amdhsa_system_sgpr_workgroup_info 0
		.amdhsa_system_vgpr_workitem_id 0
		.amdhsa_next_free_vgpr 54
		.amdhsa_next_free_sgpr 32
		.amdhsa_accum_offset 56
		.amdhsa_reserve_vcc 1
		.amdhsa_float_round_mode_32 0
		.amdhsa_float_round_mode_16_64 0
		.amdhsa_float_denorm_mode_32 3
		.amdhsa_float_denorm_mode_16_64 3
		.amdhsa_dx10_clamp 1
		.amdhsa_ieee_mode 1
		.amdhsa_fp16_overflow 0
		.amdhsa_tg_split 0
		.amdhsa_exception_fp_ieee_invalid_op 0
		.amdhsa_exception_fp_denorm_src 0
		.amdhsa_exception_fp_ieee_div_zero 0
		.amdhsa_exception_fp_ieee_overflow 0
		.amdhsa_exception_fp_ieee_underflow 0
		.amdhsa_exception_fp_ieee_inexact 0
		.amdhsa_exception_int_div_zero 0
	.end_amdhsa_kernel
	.section	.text._ZN7rocprim17ROCPRIM_304000_NS6detail20lookback_scan_kernelILNS1_25lookback_scan_determinismE0ELb1ENS1_19wrapped_scan_configINS0_14default_configElEEPKlPlN2at4cuda3cub12_GLOBAL__N_15SumOpIlEEllNS1_19lookback_scan_stateIlLb0ELb1EEEEEvT2_T3_mT5_T4_T7_jPT6_SO_bb,"axG",@progbits,_ZN7rocprim17ROCPRIM_304000_NS6detail20lookback_scan_kernelILNS1_25lookback_scan_determinismE0ELb1ENS1_19wrapped_scan_configINS0_14default_configElEEPKlPlN2at4cuda3cub12_GLOBAL__N_15SumOpIlEEllNS1_19lookback_scan_stateIlLb0ELb1EEEEEvT2_T3_mT5_T4_T7_jPT6_SO_bb,comdat
.Lfunc_end19:
	.size	_ZN7rocprim17ROCPRIM_304000_NS6detail20lookback_scan_kernelILNS1_25lookback_scan_determinismE0ELb1ENS1_19wrapped_scan_configINS0_14default_configElEEPKlPlN2at4cuda3cub12_GLOBAL__N_15SumOpIlEEllNS1_19lookback_scan_stateIlLb0ELb1EEEEEvT2_T3_mT5_T4_T7_jPT6_SO_bb, .Lfunc_end19-_ZN7rocprim17ROCPRIM_304000_NS6detail20lookback_scan_kernelILNS1_25lookback_scan_determinismE0ELb1ENS1_19wrapped_scan_configINS0_14default_configElEEPKlPlN2at4cuda3cub12_GLOBAL__N_15SumOpIlEEllNS1_19lookback_scan_stateIlLb0ELb1EEEEEvT2_T3_mT5_T4_T7_jPT6_SO_bb
                                        ; -- End function
	.set _ZN7rocprim17ROCPRIM_304000_NS6detail20lookback_scan_kernelILNS1_25lookback_scan_determinismE0ELb1ENS1_19wrapped_scan_configINS0_14default_configElEEPKlPlN2at4cuda3cub12_GLOBAL__N_15SumOpIlEEllNS1_19lookback_scan_stateIlLb0ELb1EEEEEvT2_T3_mT5_T4_T7_jPT6_SO_bb.num_vgpr, 54
	.set _ZN7rocprim17ROCPRIM_304000_NS6detail20lookback_scan_kernelILNS1_25lookback_scan_determinismE0ELb1ENS1_19wrapped_scan_configINS0_14default_configElEEPKlPlN2at4cuda3cub12_GLOBAL__N_15SumOpIlEEllNS1_19lookback_scan_stateIlLb0ELb1EEEEEvT2_T3_mT5_T4_T7_jPT6_SO_bb.num_agpr, 0
	.set _ZN7rocprim17ROCPRIM_304000_NS6detail20lookback_scan_kernelILNS1_25lookback_scan_determinismE0ELb1ENS1_19wrapped_scan_configINS0_14default_configElEEPKlPlN2at4cuda3cub12_GLOBAL__N_15SumOpIlEEllNS1_19lookback_scan_stateIlLb0ELb1EEEEEvT2_T3_mT5_T4_T7_jPT6_SO_bb.numbered_sgpr, 32
	.set _ZN7rocprim17ROCPRIM_304000_NS6detail20lookback_scan_kernelILNS1_25lookback_scan_determinismE0ELb1ENS1_19wrapped_scan_configINS0_14default_configElEEPKlPlN2at4cuda3cub12_GLOBAL__N_15SumOpIlEEllNS1_19lookback_scan_stateIlLb0ELb1EEEEEvT2_T3_mT5_T4_T7_jPT6_SO_bb.num_named_barrier, 0
	.set _ZN7rocprim17ROCPRIM_304000_NS6detail20lookback_scan_kernelILNS1_25lookback_scan_determinismE0ELb1ENS1_19wrapped_scan_configINS0_14default_configElEEPKlPlN2at4cuda3cub12_GLOBAL__N_15SumOpIlEEllNS1_19lookback_scan_stateIlLb0ELb1EEEEEvT2_T3_mT5_T4_T7_jPT6_SO_bb.private_seg_size, 0
	.set _ZN7rocprim17ROCPRIM_304000_NS6detail20lookback_scan_kernelILNS1_25lookback_scan_determinismE0ELb1ENS1_19wrapped_scan_configINS0_14default_configElEEPKlPlN2at4cuda3cub12_GLOBAL__N_15SumOpIlEEllNS1_19lookback_scan_stateIlLb0ELb1EEEEEvT2_T3_mT5_T4_T7_jPT6_SO_bb.uses_vcc, 1
	.set _ZN7rocprim17ROCPRIM_304000_NS6detail20lookback_scan_kernelILNS1_25lookback_scan_determinismE0ELb1ENS1_19wrapped_scan_configINS0_14default_configElEEPKlPlN2at4cuda3cub12_GLOBAL__N_15SumOpIlEEllNS1_19lookback_scan_stateIlLb0ELb1EEEEEvT2_T3_mT5_T4_T7_jPT6_SO_bb.uses_flat_scratch, 0
	.set _ZN7rocprim17ROCPRIM_304000_NS6detail20lookback_scan_kernelILNS1_25lookback_scan_determinismE0ELb1ENS1_19wrapped_scan_configINS0_14default_configElEEPKlPlN2at4cuda3cub12_GLOBAL__N_15SumOpIlEEllNS1_19lookback_scan_stateIlLb0ELb1EEEEEvT2_T3_mT5_T4_T7_jPT6_SO_bb.has_dyn_sized_stack, 0
	.set _ZN7rocprim17ROCPRIM_304000_NS6detail20lookback_scan_kernelILNS1_25lookback_scan_determinismE0ELb1ENS1_19wrapped_scan_configINS0_14default_configElEEPKlPlN2at4cuda3cub12_GLOBAL__N_15SumOpIlEEllNS1_19lookback_scan_stateIlLb0ELb1EEEEEvT2_T3_mT5_T4_T7_jPT6_SO_bb.has_recursion, 0
	.set _ZN7rocprim17ROCPRIM_304000_NS6detail20lookback_scan_kernelILNS1_25lookback_scan_determinismE0ELb1ENS1_19wrapped_scan_configINS0_14default_configElEEPKlPlN2at4cuda3cub12_GLOBAL__N_15SumOpIlEEllNS1_19lookback_scan_stateIlLb0ELb1EEEEEvT2_T3_mT5_T4_T7_jPT6_SO_bb.has_indirect_call, 0
	.section	.AMDGPU.csdata,"",@progbits
; Kernel info:
; codeLenInByte = 4836
; TotalNumSgprs: 38
; NumVgprs: 54
; NumAgprs: 0
; TotalNumVgprs: 54
; ScratchSize: 0
; MemoryBound: 1
; FloatMode: 240
; IeeeMode: 1
; LDSByteSize: 12288 bytes/workgroup (compile time only)
; SGPRBlocks: 4
; VGPRBlocks: 6
; NumSGPRsForWavesPerEU: 38
; NumVGPRsForWavesPerEU: 54
; AccumOffset: 56
; Occupancy: 8
; WaveLimiterHint : 1
; COMPUTE_PGM_RSRC2:SCRATCH_EN: 0
; COMPUTE_PGM_RSRC2:USER_SGPR: 2
; COMPUTE_PGM_RSRC2:TRAP_HANDLER: 0
; COMPUTE_PGM_RSRC2:TGID_X_EN: 1
; COMPUTE_PGM_RSRC2:TGID_Y_EN: 0
; COMPUTE_PGM_RSRC2:TGID_Z_EN: 0
; COMPUTE_PGM_RSRC2:TIDIG_COMP_CNT: 0
; COMPUTE_PGM_RSRC3_GFX90A:ACCUM_OFFSET: 13
; COMPUTE_PGM_RSRC3_GFX90A:TG_SPLIT: 0
	.section	.text._ZN7rocprim17ROCPRIM_304000_NS6detail18single_scan_kernelILb1ENS1_19wrapped_scan_configINS0_14default_configElEEPKlPlN2at4cuda3cub12_GLOBAL__N_15SumOpIlEEllEEvT1_mT4_T2_T3_,"axG",@progbits,_ZN7rocprim17ROCPRIM_304000_NS6detail18single_scan_kernelILb1ENS1_19wrapped_scan_configINS0_14default_configElEEPKlPlN2at4cuda3cub12_GLOBAL__N_15SumOpIlEEllEEvT1_mT4_T2_T3_,comdat
	.globl	_ZN7rocprim17ROCPRIM_304000_NS6detail18single_scan_kernelILb1ENS1_19wrapped_scan_configINS0_14default_configElEEPKlPlN2at4cuda3cub12_GLOBAL__N_15SumOpIlEEllEEvT1_mT4_T2_T3_ ; -- Begin function _ZN7rocprim17ROCPRIM_304000_NS6detail18single_scan_kernelILb1ENS1_19wrapped_scan_configINS0_14default_configElEEPKlPlN2at4cuda3cub12_GLOBAL__N_15SumOpIlEEllEEvT1_mT4_T2_T3_
	.p2align	8
	.type	_ZN7rocprim17ROCPRIM_304000_NS6detail18single_scan_kernelILb1ENS1_19wrapped_scan_configINS0_14default_configElEEPKlPlN2at4cuda3cub12_GLOBAL__N_15SumOpIlEEllEEvT1_mT4_T2_T3_,@function
_ZN7rocprim17ROCPRIM_304000_NS6detail18single_scan_kernelILb1ENS1_19wrapped_scan_configINS0_14default_configElEEPKlPlN2at4cuda3cub12_GLOBAL__N_15SumOpIlEEllEEvT1_mT4_T2_T3_: ; @_ZN7rocprim17ROCPRIM_304000_NS6detail18single_scan_kernelILb1ENS1_19wrapped_scan_configINS0_14default_configElEEPKlPlN2at4cuda3cub12_GLOBAL__N_15SumOpIlEEllEEvT1_mT4_T2_T3_
; %bb.0:
	s_load_dwordx8 s[16:23], s[0:1], 0x0
	v_mov_b32_e32 v19, 0
	v_lshlrev_b32_e32 v18, 3, v0
	s_waitcnt lgkmcnt(0)
	s_load_dwordx2 s[4:5], s[16:17], 0x0
	v_lshl_add_u64 v[20:21], s[16:17], 0, v[18:19]
	v_cmp_gt_u32_e64 s[0:1], s18, v0
	s_waitcnt lgkmcnt(0)
	s_mov_b32 s6, s4
	s_mov_b32 s7, s5
	;; [unrolled: 1-line block ×10, first 2 shown]
	v_mov_b64_e32 v[2:3], s[4:5]
	v_mov_b64_e32 v[4:5], s[6:7]
	;; [unrolled: 1-line block ×8, first 2 shown]
	s_and_saveexec_b64 s[2:3], s[0:1]
	s_cbranch_execz .LBB20_2
; %bb.1:
	global_load_dwordx2 v[2:3], v[20:21], off
	v_mov_b32_e32 v4, s4
	v_mov_b32_e32 v5, s5
	;; [unrolled: 1-line block ×10, first 2 shown]
.LBB20_2:
	s_or_b64 exec, exec, s[2:3]
	v_or_b32_e32 v1, 0x100, v0
	v_cmp_gt_u32_e64 s[2:3], s18, v1
	s_and_saveexec_b64 s[4:5], s[2:3]
	s_cbranch_execz .LBB20_4
; %bb.3:
	global_load_dwordx2 v[4:5], v[20:21], off offset:2048
.LBB20_4:
	s_or_b64 exec, exec, s[4:5]
	v_or_b32_e32 v1, 0x200, v0
	v_cmp_gt_u32_e64 s[4:5], s18, v1
	s_and_saveexec_b64 s[6:7], s[4:5]
	s_cbranch_execz .LBB20_6
; %bb.5:
	v_add_co_u32_e32 v6, vcc, 0x1000, v20
	s_nop 1
	v_addc_co_u32_e32 v7, vcc, 0, v21, vcc
	global_load_dwordx2 v[6:7], v[6:7], off
.LBB20_6:
	s_or_b64 exec, exec, s[6:7]
	v_or_b32_e32 v1, 0x300, v0
	v_cmp_gt_u32_e64 s[6:7], s18, v1
	s_and_saveexec_b64 s[8:9], s[6:7]
	s_cbranch_execz .LBB20_8
; %bb.7:
	v_add_co_u32_e32 v8, vcc, 0x1000, v20
	s_nop 1
	v_addc_co_u32_e32 v9, vcc, 0, v21, vcc
	global_load_dwordx2 v[8:9], v[8:9], off offset:2048
.LBB20_8:
	s_or_b64 exec, exec, s[8:9]
	v_or_b32_e32 v1, 0x400, v0
	v_cmp_gt_u32_e64 s[8:9], s18, v1
	s_and_saveexec_b64 s[10:11], s[8:9]
	s_cbranch_execz .LBB20_10
; %bb.9:
	v_add_co_u32_e32 v10, vcc, 0x2000, v20
	s_nop 1
	v_addc_co_u32_e32 v11, vcc, 0, v21, vcc
	global_load_dwordx2 v[10:11], v[10:11], off
.LBB20_10:
	s_or_b64 exec, exec, s[10:11]
	v_or_b32_e32 v1, 0x500, v0
	v_cmp_gt_u32_e64 s[10:11], s18, v1
	s_and_saveexec_b64 s[12:13], s[10:11]
	s_cbranch_execz .LBB20_12
; %bb.11:
	v_add_co_u32_e32 v12, vcc, 0x2000, v20
	s_nop 1
	v_addc_co_u32_e32 v13, vcc, 0, v21, vcc
	global_load_dwordx2 v[12:13], v[12:13], off offset:2048
.LBB20_12:
	s_or_b64 exec, exec, s[12:13]
	v_mad_u32_u24 v1, v0, 40, v18
	s_waitcnt vmcnt(0)
	ds_write2st64_b64 v18, v[2:3], v[4:5] offset1:4
	ds_write2st64_b64 v18, v[6:7], v[8:9] offset0:8 offset1:12
	ds_write2st64_b64 v18, v[10:11], v[12:13] offset0:16 offset1:20
	s_waitcnt lgkmcnt(0)
	s_barrier
	ds_read_b128 v[10:13], v1
	ds_read_b128 v[2:5], v1 offset:16
	ds_read_b128 v[6:9], v1 offset:32
	v_mbcnt_lo_u32_b32 v1, -1, 0
	v_mov_b32_e32 v16, 0
	s_waitcnt lgkmcnt(2)
	v_lshl_add_u64 v[14:15], v[12:13], 0, v[10:11]
	s_waitcnt lgkmcnt(1)
	v_lshl_add_u64 v[14:15], v[14:15], 0, v[2:3]
	v_lshl_add_u64 v[14:15], v[14:15], 0, v[4:5]
	s_waitcnt lgkmcnt(0)
	v_lshl_add_u64 v[14:15], v[14:15], 0, v[6:7]
	v_lshl_add_u64 v[8:9], v[14:15], 0, v[8:9]
	v_mbcnt_hi_u32_b32 v1, -1, v1
	v_mov_b32_e32 v15, v16
	v_mov_b32_dpp v14, v8 row_shr:1 row_mask:0xf bank_mask:0xf
	v_and_b32_e32 v19, 15, v1
	v_mov_b32_dpp v17, v9 row_shr:1 row_mask:0xf bank_mask:0xf
	v_lshl_add_u64 v[14:15], v[8:9], 0, v[14:15]
	v_lshl_add_u64 v[16:17], v[16:17], 0, v[14:15]
	v_cmp_eq_u32_e32 vcc, 0, v19
	v_cmp_ne_u32_e64 s[14:15], 0, v1
	s_nop 0
	v_cndmask_b32_e32 v20, v14, v8, vcc
	v_cndmask_b32_e32 v15, v17, v9, vcc
	;; [unrolled: 1-line block ×3, first 2 shown]
	v_mov_b32_dpp v16, v20 row_shr:2 row_mask:0xf bank_mask:0xf
	v_mov_b32_dpp v17, v15 row_shr:2 row_mask:0xf bank_mask:0xf
	v_lshl_add_u64 v[16:17], v[16:17], 0, v[14:15]
	v_cmp_lt_u32_e32 vcc, 1, v19
	s_barrier
	s_nop 0
	v_cndmask_b32_e32 v20, v20, v16, vcc
	v_cndmask_b32_e32 v15, v15, v17, vcc
	;; [unrolled: 1-line block ×3, first 2 shown]
	v_mov_b32_dpp v16, v20 row_shr:4 row_mask:0xf bank_mask:0xf
	v_mov_b32_dpp v17, v15 row_shr:4 row_mask:0xf bank_mask:0xf
	v_lshl_add_u64 v[16:17], v[16:17], 0, v[14:15]
	v_cmp_lt_u32_e32 vcc, 3, v19
	s_nop 1
	v_cndmask_b32_e32 v20, v20, v16, vcc
	v_cndmask_b32_e32 v15, v15, v17, vcc
	;; [unrolled: 1-line block ×3, first 2 shown]
	v_mov_b32_dpp v16, v20 row_shr:8 row_mask:0xf bank_mask:0xf
	v_mov_b32_dpp v17, v15 row_shr:8 row_mask:0xf bank_mask:0xf
	v_lshl_add_u64 v[16:17], v[16:17], 0, v[14:15]
	v_cmp_lt_u32_e32 vcc, 7, v19
	s_nop 1
	v_cndmask_b32_e32 v19, v20, v16, vcc
	v_cndmask_b32_e32 v15, v15, v17, vcc
	v_cndmask_b32_e32 v14, v14, v16, vcc
	v_mov_b32_dpp v16, v19 row_bcast:15 row_mask:0xf bank_mask:0xf
	v_mov_b32_dpp v17, v15 row_bcast:15 row_mask:0xf bank_mask:0xf
	v_and_b32_e32 v20, 16, v1
	v_lshl_add_u64 v[16:17], v[16:17], 0, v[14:15]
	v_cmp_eq_u32_e64 s[12:13], 0, v20
	v_cmp_eq_u32_e32 vcc, 0, v1
	s_nop 0
	v_cndmask_b32_e64 v20, v17, v15, s[12:13]
	v_cndmask_b32_e64 v19, v16, v19, s[12:13]
	s_nop 0
	v_mov_b32_dpp v20, v20 row_bcast:31 row_mask:0xf bank_mask:0xf
	v_mov_b32_dpp v19, v19 row_bcast:31 row_mask:0xf bank_mask:0xf
	s_and_saveexec_b64 s[16:17], s[14:15]
; %bb.13:
	v_cndmask_b32_e64 v9, v17, v15, s[12:13]
	v_cndmask_b32_e64 v8, v16, v14, s[12:13]
	v_cmp_lt_u32_e64 s[12:13], 31, v1
	s_nop 1
	v_cndmask_b32_e64 v15, 0, v20, s[12:13]
	v_cndmask_b32_e64 v14, 0, v19, s[12:13]
	v_lshl_add_u64 v[8:9], v[14:15], 0, v[8:9]
; %bb.14:
	s_or_b64 exec, exec, s[16:17]
	v_or_b32_e32 v14, 63, v0
	v_lshrrev_b32_e32 v16, 6, v0
	v_cmp_eq_u32_e64 s[12:13], v0, v14
	s_and_saveexec_b64 s[14:15], s[12:13]
; %bb.15:
	v_lshlrev_b32_e32 v14, 3, v16
	ds_write_b64 v14, v[8:9]
; %bb.16:
	s_or_b64 exec, exec, s[14:15]
	v_cmp_gt_u32_e64 s[12:13], 4, v0
	s_waitcnt lgkmcnt(0)
	s_barrier
	s_and_saveexec_b64 s[14:15], s[12:13]
	s_cbranch_execz .LBB20_18
; %bb.17:
	ds_read_b64 v[14:15], v18
	v_mov_b32_e32 v20, 0
	v_mov_b32_e32 v23, v20
	v_and_b32_e32 v17, 3, v1
	v_cmp_eq_u32_e64 s[12:13], 0, v17
	s_waitcnt lgkmcnt(0)
	v_mov_b32_dpp v22, v14 row_shr:1 row_mask:0xf bank_mask:0xf
	v_mov_b32_dpp v21, v15 row_shr:1 row_mask:0xf bank_mask:0xf
	v_lshl_add_u64 v[22:23], v[14:15], 0, v[22:23]
	v_lshl_add_u64 v[20:21], v[20:21], 0, v[22:23]
	v_cndmask_b32_e64 v21, v21, v15, s[12:13]
	v_cndmask_b32_e64 v20, v20, v14, s[12:13]
	;; [unrolled: 1-line block ×3, first 2 shown]
	v_mov_b32_dpp v15, v21 row_shr:2 row_mask:0xf bank_mask:0xf
	v_cmp_lt_u32_e64 s[12:13], 1, v17
	v_mov_b32_dpp v14, v14 row_shr:2 row_mask:0xf bank_mask:0xf
	s_nop 0
	v_cndmask_b32_e64 v14, 0, v14, s[12:13]
	v_cndmask_b32_e64 v15, 0, v15, s[12:13]
	v_lshl_add_u64 v[14:15], v[14:15], 0, v[20:21]
	ds_write_b64 v18, v[14:15]
.LBB20_18:
	s_or_b64 exec, exec, s[14:15]
	v_mul_u32_u24_e32 v17, 40, v0
	v_cmp_lt_u32_e64 s[12:13], 63, v0
	v_mov_b64_e32 v[14:15], s[20:21]
	s_waitcnt lgkmcnt(0)
	s_barrier
	s_and_saveexec_b64 s[14:15], s[12:13]
	s_cbranch_execz .LBB20_20
; %bb.19:
	v_lshl_add_u32 v14, v16, 3, -8
	ds_read_b64 v[14:15], v14
	s_waitcnt lgkmcnt(0)
	v_lshl_add_u64 v[14:15], v[14:15], 0, s[20:21]
.LBB20_20:
	s_or_b64 exec, exec, s[14:15]
	v_add_u32_e32 v16, -1, v1
	v_and_b32_e32 v19, 64, v1
	v_cmp_lt_i32_e64 s[12:13], v16, v19
	v_lshl_add_u64 v[8:9], v[14:15], 0, v[8:9]
	s_nop 0
	v_cndmask_b32_e64 v1, v16, v1, s[12:13]
	v_lshlrev_b32_e32 v1, 2, v1
	ds_bpermute_b32 v8, v1, v8
	ds_bpermute_b32 v1, v1, v9
	v_mov_b32_e32 v9, s21
	s_barrier
	s_waitcnt lgkmcnt(0)
	v_cndmask_b32_e32 v8, v8, v14, vcc
	v_cndmask_b32_e32 v1, v1, v15, vcc
	v_cmp_eq_u32_e32 vcc, 0, v0
	v_lshlrev_b32_e32 v0, 3, v0
	s_nop 0
	v_cndmask_b32_e32 v9, v1, v9, vcc
	v_mov_b32_e32 v1, s20
	v_cndmask_b32_e32 v8, v8, v1, vcc
	v_lshl_add_u64 v[10:11], v[8:9], 0, v[10:11]
	v_lshl_add_u64 v[12:13], v[10:11], 0, v[12:13]
	;; [unrolled: 1-line block ×5, first 2 shown]
	v_add_u32_e32 v1, v18, v17
	ds_write_b128 v1, v[8:11]
	ds_write_b128 v1, v[12:15] offset:16
	ds_write_b128 v1, v[2:5] offset:32
	s_waitcnt lgkmcnt(0)
	s_barrier
	ds_read2st64_b64 v[6:9], v18 offset0:4 offset1:8
	ds_read2st64_b64 v[2:5], v18 offset0:12 offset1:16
	ds_read_b64 v[10:11], v18 offset:10240
	v_mov_b32_e32 v1, 0
	v_lshl_add_u64 v[0:1], s[22:23], 0, v[0:1]
	s_and_saveexec_b64 s[12:13], s[0:1]
	s_cbranch_execnz .LBB20_27
; %bb.21:
	s_or_b64 exec, exec, s[12:13]
	s_and_saveexec_b64 s[0:1], s[2:3]
	s_cbranch_execnz .LBB20_28
.LBB20_22:
	s_or_b64 exec, exec, s[0:1]
	s_and_saveexec_b64 s[0:1], s[4:5]
	s_cbranch_execnz .LBB20_29
.LBB20_23:
	s_or_b64 exec, exec, s[0:1]
	s_and_saveexec_b64 s[0:1], s[6:7]
	s_cbranch_execnz .LBB20_30
.LBB20_24:
	s_or_b64 exec, exec, s[0:1]
	s_and_saveexec_b64 s[0:1], s[8:9]
	s_cbranch_execnz .LBB20_31
.LBB20_25:
	s_or_b64 exec, exec, s[0:1]
	s_and_saveexec_b64 s[0:1], s[10:11]
	s_cbranch_execnz .LBB20_32
.LBB20_26:
	s_endpgm
.LBB20_27:
	ds_read_b64 v[12:13], v18
	s_waitcnt lgkmcnt(0)
	global_store_dwordx2 v[0:1], v[12:13], off
	s_or_b64 exec, exec, s[12:13]
	s_and_saveexec_b64 s[0:1], s[2:3]
	s_cbranch_execz .LBB20_22
.LBB20_28:
	s_waitcnt lgkmcnt(2)
	global_store_dwordx2 v[0:1], v[6:7], off offset:2048
	s_or_b64 exec, exec, s[0:1]
	s_and_saveexec_b64 s[0:1], s[4:5]
	s_cbranch_execz .LBB20_23
.LBB20_29:
	s_waitcnt lgkmcnt(2)
	v_add_co_u32_e32 v6, vcc, 0x1000, v0
	s_nop 1
	v_addc_co_u32_e32 v7, vcc, 0, v1, vcc
	global_store_dwordx2 v[6:7], v[8:9], off
	s_or_b64 exec, exec, s[0:1]
	s_and_saveexec_b64 s[0:1], s[6:7]
	s_cbranch_execz .LBB20_24
.LBB20_30:
	s_waitcnt lgkmcnt(2)
	v_add_co_u32_e32 v6, vcc, 0x1000, v0
	s_nop 1
	v_addc_co_u32_e32 v7, vcc, 0, v1, vcc
	s_waitcnt lgkmcnt(1)
	global_store_dwordx2 v[6:7], v[2:3], off offset:2048
	s_or_b64 exec, exec, s[0:1]
	s_and_saveexec_b64 s[0:1], s[8:9]
	s_cbranch_execz .LBB20_25
.LBB20_31:
	s_waitcnt lgkmcnt(1)
	v_add_co_u32_e32 v2, vcc, 0x2000, v0
	s_nop 1
	v_addc_co_u32_e32 v3, vcc, 0, v1, vcc
	global_store_dwordx2 v[2:3], v[4:5], off
	s_or_b64 exec, exec, s[0:1]
	s_and_saveexec_b64 s[0:1], s[10:11]
	s_cbranch_execz .LBB20_26
.LBB20_32:
	v_add_co_u32_e32 v0, vcc, 0x2000, v0
	s_nop 1
	v_addc_co_u32_e32 v1, vcc, 0, v1, vcc
	s_waitcnt lgkmcnt(0)
	global_store_dwordx2 v[0:1], v[10:11], off offset:2048
	s_endpgm
	.section	.rodata,"a",@progbits
	.p2align	6, 0x0
	.amdhsa_kernel _ZN7rocprim17ROCPRIM_304000_NS6detail18single_scan_kernelILb1ENS1_19wrapped_scan_configINS0_14default_configElEEPKlPlN2at4cuda3cub12_GLOBAL__N_15SumOpIlEEllEEvT1_mT4_T2_T3_
		.amdhsa_group_segment_fixed_size 12288
		.amdhsa_private_segment_fixed_size 0
		.amdhsa_kernarg_size 36
		.amdhsa_user_sgpr_count 2
		.amdhsa_user_sgpr_dispatch_ptr 0
		.amdhsa_user_sgpr_queue_ptr 0
		.amdhsa_user_sgpr_kernarg_segment_ptr 1
		.amdhsa_user_sgpr_dispatch_id 0
		.amdhsa_user_sgpr_kernarg_preload_length 0
		.amdhsa_user_sgpr_kernarg_preload_offset 0
		.amdhsa_user_sgpr_private_segment_size 0
		.amdhsa_uses_dynamic_stack 0
		.amdhsa_enable_private_segment 0
		.amdhsa_system_sgpr_workgroup_id_x 1
		.amdhsa_system_sgpr_workgroup_id_y 0
		.amdhsa_system_sgpr_workgroup_id_z 0
		.amdhsa_system_sgpr_workgroup_info 0
		.amdhsa_system_vgpr_workitem_id 0
		.amdhsa_next_free_vgpr 24
		.amdhsa_next_free_sgpr 24
		.amdhsa_accum_offset 24
		.amdhsa_reserve_vcc 1
		.amdhsa_float_round_mode_32 0
		.amdhsa_float_round_mode_16_64 0
		.amdhsa_float_denorm_mode_32 3
		.amdhsa_float_denorm_mode_16_64 3
		.amdhsa_dx10_clamp 1
		.amdhsa_ieee_mode 1
		.amdhsa_fp16_overflow 0
		.amdhsa_tg_split 0
		.amdhsa_exception_fp_ieee_invalid_op 0
		.amdhsa_exception_fp_denorm_src 0
		.amdhsa_exception_fp_ieee_div_zero 0
		.amdhsa_exception_fp_ieee_overflow 0
		.amdhsa_exception_fp_ieee_underflow 0
		.amdhsa_exception_fp_ieee_inexact 0
		.amdhsa_exception_int_div_zero 0
	.end_amdhsa_kernel
	.section	.text._ZN7rocprim17ROCPRIM_304000_NS6detail18single_scan_kernelILb1ENS1_19wrapped_scan_configINS0_14default_configElEEPKlPlN2at4cuda3cub12_GLOBAL__N_15SumOpIlEEllEEvT1_mT4_T2_T3_,"axG",@progbits,_ZN7rocprim17ROCPRIM_304000_NS6detail18single_scan_kernelILb1ENS1_19wrapped_scan_configINS0_14default_configElEEPKlPlN2at4cuda3cub12_GLOBAL__N_15SumOpIlEEllEEvT1_mT4_T2_T3_,comdat
.Lfunc_end20:
	.size	_ZN7rocprim17ROCPRIM_304000_NS6detail18single_scan_kernelILb1ENS1_19wrapped_scan_configINS0_14default_configElEEPKlPlN2at4cuda3cub12_GLOBAL__N_15SumOpIlEEllEEvT1_mT4_T2_T3_, .Lfunc_end20-_ZN7rocprim17ROCPRIM_304000_NS6detail18single_scan_kernelILb1ENS1_19wrapped_scan_configINS0_14default_configElEEPKlPlN2at4cuda3cub12_GLOBAL__N_15SumOpIlEEllEEvT1_mT4_T2_T3_
                                        ; -- End function
	.set _ZN7rocprim17ROCPRIM_304000_NS6detail18single_scan_kernelILb1ENS1_19wrapped_scan_configINS0_14default_configElEEPKlPlN2at4cuda3cub12_GLOBAL__N_15SumOpIlEEllEEvT1_mT4_T2_T3_.num_vgpr, 24
	.set _ZN7rocprim17ROCPRIM_304000_NS6detail18single_scan_kernelILb1ENS1_19wrapped_scan_configINS0_14default_configElEEPKlPlN2at4cuda3cub12_GLOBAL__N_15SumOpIlEEllEEvT1_mT4_T2_T3_.num_agpr, 0
	.set _ZN7rocprim17ROCPRIM_304000_NS6detail18single_scan_kernelILb1ENS1_19wrapped_scan_configINS0_14default_configElEEPKlPlN2at4cuda3cub12_GLOBAL__N_15SumOpIlEEllEEvT1_mT4_T2_T3_.numbered_sgpr, 24
	.set _ZN7rocprim17ROCPRIM_304000_NS6detail18single_scan_kernelILb1ENS1_19wrapped_scan_configINS0_14default_configElEEPKlPlN2at4cuda3cub12_GLOBAL__N_15SumOpIlEEllEEvT1_mT4_T2_T3_.num_named_barrier, 0
	.set _ZN7rocprim17ROCPRIM_304000_NS6detail18single_scan_kernelILb1ENS1_19wrapped_scan_configINS0_14default_configElEEPKlPlN2at4cuda3cub12_GLOBAL__N_15SumOpIlEEllEEvT1_mT4_T2_T3_.private_seg_size, 0
	.set _ZN7rocprim17ROCPRIM_304000_NS6detail18single_scan_kernelILb1ENS1_19wrapped_scan_configINS0_14default_configElEEPKlPlN2at4cuda3cub12_GLOBAL__N_15SumOpIlEEllEEvT1_mT4_T2_T3_.uses_vcc, 1
	.set _ZN7rocprim17ROCPRIM_304000_NS6detail18single_scan_kernelILb1ENS1_19wrapped_scan_configINS0_14default_configElEEPKlPlN2at4cuda3cub12_GLOBAL__N_15SumOpIlEEllEEvT1_mT4_T2_T3_.uses_flat_scratch, 0
	.set _ZN7rocprim17ROCPRIM_304000_NS6detail18single_scan_kernelILb1ENS1_19wrapped_scan_configINS0_14default_configElEEPKlPlN2at4cuda3cub12_GLOBAL__N_15SumOpIlEEllEEvT1_mT4_T2_T3_.has_dyn_sized_stack, 0
	.set _ZN7rocprim17ROCPRIM_304000_NS6detail18single_scan_kernelILb1ENS1_19wrapped_scan_configINS0_14default_configElEEPKlPlN2at4cuda3cub12_GLOBAL__N_15SumOpIlEEllEEvT1_mT4_T2_T3_.has_recursion, 0
	.set _ZN7rocprim17ROCPRIM_304000_NS6detail18single_scan_kernelILb1ENS1_19wrapped_scan_configINS0_14default_configElEEPKlPlN2at4cuda3cub12_GLOBAL__N_15SumOpIlEEllEEvT1_mT4_T2_T3_.has_indirect_call, 0
	.section	.AMDGPU.csdata,"",@progbits
; Kernel info:
; codeLenInByte = 1680
; TotalNumSgprs: 30
; NumVgprs: 24
; NumAgprs: 0
; TotalNumVgprs: 24
; ScratchSize: 0
; MemoryBound: 1
; FloatMode: 240
; IeeeMode: 1
; LDSByteSize: 12288 bytes/workgroup (compile time only)
; SGPRBlocks: 3
; VGPRBlocks: 2
; NumSGPRsForWavesPerEU: 30
; NumVGPRsForWavesPerEU: 24
; AccumOffset: 24
; Occupancy: 8
; WaveLimiterHint : 0
; COMPUTE_PGM_RSRC2:SCRATCH_EN: 0
; COMPUTE_PGM_RSRC2:USER_SGPR: 2
; COMPUTE_PGM_RSRC2:TRAP_HANDLER: 0
; COMPUTE_PGM_RSRC2:TGID_X_EN: 1
; COMPUTE_PGM_RSRC2:TGID_Y_EN: 0
; COMPUTE_PGM_RSRC2:TGID_Z_EN: 0
; COMPUTE_PGM_RSRC2:TIDIG_COMP_CNT: 0
; COMPUTE_PGM_RSRC3_GFX90A:ACCUM_OFFSET: 5
; COMPUTE_PGM_RSRC3_GFX90A:TG_SPLIT: 0
	.section	.text._ZN7rocprim17ROCPRIM_304000_NS6detail20lookback_scan_kernelILNS1_25lookback_scan_determinismE0ELb1ENS1_19wrapped_scan_configINS0_14default_configElEEN6hipcub22TransformInputIteratorIbN2at4cuda3cub12_GLOBAL__N_111CountMaskOpEPKhlEEPlNSC_5SumOpIlEEllNS1_19lookback_scan_stateIlLb1ELb1EEEEEvT2_T3_mT5_T4_T7_jPT6_SS_bb,"axG",@progbits,_ZN7rocprim17ROCPRIM_304000_NS6detail20lookback_scan_kernelILNS1_25lookback_scan_determinismE0ELb1ENS1_19wrapped_scan_configINS0_14default_configElEEN6hipcub22TransformInputIteratorIbN2at4cuda3cub12_GLOBAL__N_111CountMaskOpEPKhlEEPlNSC_5SumOpIlEEllNS1_19lookback_scan_stateIlLb1ELb1EEEEEvT2_T3_mT5_T4_T7_jPT6_SS_bb,comdat
	.globl	_ZN7rocprim17ROCPRIM_304000_NS6detail20lookback_scan_kernelILNS1_25lookback_scan_determinismE0ELb1ENS1_19wrapped_scan_configINS0_14default_configElEEN6hipcub22TransformInputIteratorIbN2at4cuda3cub12_GLOBAL__N_111CountMaskOpEPKhlEEPlNSC_5SumOpIlEEllNS1_19lookback_scan_stateIlLb1ELb1EEEEEvT2_T3_mT5_T4_T7_jPT6_SS_bb ; -- Begin function _ZN7rocprim17ROCPRIM_304000_NS6detail20lookback_scan_kernelILNS1_25lookback_scan_determinismE0ELb1ENS1_19wrapped_scan_configINS0_14default_configElEEN6hipcub22TransformInputIteratorIbN2at4cuda3cub12_GLOBAL__N_111CountMaskOpEPKhlEEPlNSC_5SumOpIlEEllNS1_19lookback_scan_stateIlLb1ELb1EEEEEvT2_T3_mT5_T4_T7_jPT6_SS_bb
	.p2align	8
	.type	_ZN7rocprim17ROCPRIM_304000_NS6detail20lookback_scan_kernelILNS1_25lookback_scan_determinismE0ELb1ENS1_19wrapped_scan_configINS0_14default_configElEEN6hipcub22TransformInputIteratorIbN2at4cuda3cub12_GLOBAL__N_111CountMaskOpEPKhlEEPlNSC_5SumOpIlEEllNS1_19lookback_scan_stateIlLb1ELb1EEEEEvT2_T3_mT5_T4_T7_jPT6_SS_bb,@function
_ZN7rocprim17ROCPRIM_304000_NS6detail20lookback_scan_kernelILNS1_25lookback_scan_determinismE0ELb1ENS1_19wrapped_scan_configINS0_14default_configElEEN6hipcub22TransformInputIteratorIbN2at4cuda3cub12_GLOBAL__N_111CountMaskOpEPKhlEEPlNSC_5SumOpIlEEllNS1_19lookback_scan_stateIlLb1ELb1EEEEEvT2_T3_mT5_T4_T7_jPT6_SS_bb: ; @_ZN7rocprim17ROCPRIM_304000_NS6detail20lookback_scan_kernelILNS1_25lookback_scan_determinismE0ELb1ENS1_19wrapped_scan_configINS0_14default_configElEEN6hipcub22TransformInputIteratorIbN2at4cuda3cub12_GLOBAL__N_111CountMaskOpEPKhlEEPlNSC_5SumOpIlEEllNS1_19lookback_scan_stateIlLb1ELb1EEEEEvT2_T3_mT5_T4_T7_jPT6_SS_bb
; %bb.0:
	s_endpgm
	.section	.rodata,"a",@progbits
	.p2align	6, 0x0
	.amdhsa_kernel _ZN7rocprim17ROCPRIM_304000_NS6detail20lookback_scan_kernelILNS1_25lookback_scan_determinismE0ELb1ENS1_19wrapped_scan_configINS0_14default_configElEEN6hipcub22TransformInputIteratorIbN2at4cuda3cub12_GLOBAL__N_111CountMaskOpEPKhlEEPlNSC_5SumOpIlEEllNS1_19lookback_scan_stateIlLb1ELb1EEEEEvT2_T3_mT5_T4_T7_jPT6_SS_bb
		.amdhsa_group_segment_fixed_size 0
		.amdhsa_private_segment_fixed_size 0
		.amdhsa_kernarg_size 84
		.amdhsa_user_sgpr_count 2
		.amdhsa_user_sgpr_dispatch_ptr 0
		.amdhsa_user_sgpr_queue_ptr 0
		.amdhsa_user_sgpr_kernarg_segment_ptr 1
		.amdhsa_user_sgpr_dispatch_id 0
		.amdhsa_user_sgpr_kernarg_preload_length 0
		.amdhsa_user_sgpr_kernarg_preload_offset 0
		.amdhsa_user_sgpr_private_segment_size 0
		.amdhsa_uses_dynamic_stack 0
		.amdhsa_enable_private_segment 0
		.amdhsa_system_sgpr_workgroup_id_x 1
		.amdhsa_system_sgpr_workgroup_id_y 0
		.amdhsa_system_sgpr_workgroup_id_z 0
		.amdhsa_system_sgpr_workgroup_info 0
		.amdhsa_system_vgpr_workitem_id 0
		.amdhsa_next_free_vgpr 1
		.amdhsa_next_free_sgpr 0
		.amdhsa_accum_offset 4
		.amdhsa_reserve_vcc 0
		.amdhsa_float_round_mode_32 0
		.amdhsa_float_round_mode_16_64 0
		.amdhsa_float_denorm_mode_32 3
		.amdhsa_float_denorm_mode_16_64 3
		.amdhsa_dx10_clamp 1
		.amdhsa_ieee_mode 1
		.amdhsa_fp16_overflow 0
		.amdhsa_tg_split 0
		.amdhsa_exception_fp_ieee_invalid_op 0
		.amdhsa_exception_fp_denorm_src 0
		.amdhsa_exception_fp_ieee_div_zero 0
		.amdhsa_exception_fp_ieee_overflow 0
		.amdhsa_exception_fp_ieee_underflow 0
		.amdhsa_exception_fp_ieee_inexact 0
		.amdhsa_exception_int_div_zero 0
	.end_amdhsa_kernel
	.section	.text._ZN7rocprim17ROCPRIM_304000_NS6detail20lookback_scan_kernelILNS1_25lookback_scan_determinismE0ELb1ENS1_19wrapped_scan_configINS0_14default_configElEEN6hipcub22TransformInputIteratorIbN2at4cuda3cub12_GLOBAL__N_111CountMaskOpEPKhlEEPlNSC_5SumOpIlEEllNS1_19lookback_scan_stateIlLb1ELb1EEEEEvT2_T3_mT5_T4_T7_jPT6_SS_bb,"axG",@progbits,_ZN7rocprim17ROCPRIM_304000_NS6detail20lookback_scan_kernelILNS1_25lookback_scan_determinismE0ELb1ENS1_19wrapped_scan_configINS0_14default_configElEEN6hipcub22TransformInputIteratorIbN2at4cuda3cub12_GLOBAL__N_111CountMaskOpEPKhlEEPlNSC_5SumOpIlEEllNS1_19lookback_scan_stateIlLb1ELb1EEEEEvT2_T3_mT5_T4_T7_jPT6_SS_bb,comdat
.Lfunc_end21:
	.size	_ZN7rocprim17ROCPRIM_304000_NS6detail20lookback_scan_kernelILNS1_25lookback_scan_determinismE0ELb1ENS1_19wrapped_scan_configINS0_14default_configElEEN6hipcub22TransformInputIteratorIbN2at4cuda3cub12_GLOBAL__N_111CountMaskOpEPKhlEEPlNSC_5SumOpIlEEllNS1_19lookback_scan_stateIlLb1ELb1EEEEEvT2_T3_mT5_T4_T7_jPT6_SS_bb, .Lfunc_end21-_ZN7rocprim17ROCPRIM_304000_NS6detail20lookback_scan_kernelILNS1_25lookback_scan_determinismE0ELb1ENS1_19wrapped_scan_configINS0_14default_configElEEN6hipcub22TransformInputIteratorIbN2at4cuda3cub12_GLOBAL__N_111CountMaskOpEPKhlEEPlNSC_5SumOpIlEEllNS1_19lookback_scan_stateIlLb1ELb1EEEEEvT2_T3_mT5_T4_T7_jPT6_SS_bb
                                        ; -- End function
	.set _ZN7rocprim17ROCPRIM_304000_NS6detail20lookback_scan_kernelILNS1_25lookback_scan_determinismE0ELb1ENS1_19wrapped_scan_configINS0_14default_configElEEN6hipcub22TransformInputIteratorIbN2at4cuda3cub12_GLOBAL__N_111CountMaskOpEPKhlEEPlNSC_5SumOpIlEEllNS1_19lookback_scan_stateIlLb1ELb1EEEEEvT2_T3_mT5_T4_T7_jPT6_SS_bb.num_vgpr, 0
	.set _ZN7rocprim17ROCPRIM_304000_NS6detail20lookback_scan_kernelILNS1_25lookback_scan_determinismE0ELb1ENS1_19wrapped_scan_configINS0_14default_configElEEN6hipcub22TransformInputIteratorIbN2at4cuda3cub12_GLOBAL__N_111CountMaskOpEPKhlEEPlNSC_5SumOpIlEEllNS1_19lookback_scan_stateIlLb1ELb1EEEEEvT2_T3_mT5_T4_T7_jPT6_SS_bb.num_agpr, 0
	.set _ZN7rocprim17ROCPRIM_304000_NS6detail20lookback_scan_kernelILNS1_25lookback_scan_determinismE0ELb1ENS1_19wrapped_scan_configINS0_14default_configElEEN6hipcub22TransformInputIteratorIbN2at4cuda3cub12_GLOBAL__N_111CountMaskOpEPKhlEEPlNSC_5SumOpIlEEllNS1_19lookback_scan_stateIlLb1ELb1EEEEEvT2_T3_mT5_T4_T7_jPT6_SS_bb.numbered_sgpr, 0
	.set _ZN7rocprim17ROCPRIM_304000_NS6detail20lookback_scan_kernelILNS1_25lookback_scan_determinismE0ELb1ENS1_19wrapped_scan_configINS0_14default_configElEEN6hipcub22TransformInputIteratorIbN2at4cuda3cub12_GLOBAL__N_111CountMaskOpEPKhlEEPlNSC_5SumOpIlEEllNS1_19lookback_scan_stateIlLb1ELb1EEEEEvT2_T3_mT5_T4_T7_jPT6_SS_bb.num_named_barrier, 0
	.set _ZN7rocprim17ROCPRIM_304000_NS6detail20lookback_scan_kernelILNS1_25lookback_scan_determinismE0ELb1ENS1_19wrapped_scan_configINS0_14default_configElEEN6hipcub22TransformInputIteratorIbN2at4cuda3cub12_GLOBAL__N_111CountMaskOpEPKhlEEPlNSC_5SumOpIlEEllNS1_19lookback_scan_stateIlLb1ELb1EEEEEvT2_T3_mT5_T4_T7_jPT6_SS_bb.private_seg_size, 0
	.set _ZN7rocprim17ROCPRIM_304000_NS6detail20lookback_scan_kernelILNS1_25lookback_scan_determinismE0ELb1ENS1_19wrapped_scan_configINS0_14default_configElEEN6hipcub22TransformInputIteratorIbN2at4cuda3cub12_GLOBAL__N_111CountMaskOpEPKhlEEPlNSC_5SumOpIlEEllNS1_19lookback_scan_stateIlLb1ELb1EEEEEvT2_T3_mT5_T4_T7_jPT6_SS_bb.uses_vcc, 0
	.set _ZN7rocprim17ROCPRIM_304000_NS6detail20lookback_scan_kernelILNS1_25lookback_scan_determinismE0ELb1ENS1_19wrapped_scan_configINS0_14default_configElEEN6hipcub22TransformInputIteratorIbN2at4cuda3cub12_GLOBAL__N_111CountMaskOpEPKhlEEPlNSC_5SumOpIlEEllNS1_19lookback_scan_stateIlLb1ELb1EEEEEvT2_T3_mT5_T4_T7_jPT6_SS_bb.uses_flat_scratch, 0
	.set _ZN7rocprim17ROCPRIM_304000_NS6detail20lookback_scan_kernelILNS1_25lookback_scan_determinismE0ELb1ENS1_19wrapped_scan_configINS0_14default_configElEEN6hipcub22TransformInputIteratorIbN2at4cuda3cub12_GLOBAL__N_111CountMaskOpEPKhlEEPlNSC_5SumOpIlEEllNS1_19lookback_scan_stateIlLb1ELb1EEEEEvT2_T3_mT5_T4_T7_jPT6_SS_bb.has_dyn_sized_stack, 0
	.set _ZN7rocprim17ROCPRIM_304000_NS6detail20lookback_scan_kernelILNS1_25lookback_scan_determinismE0ELb1ENS1_19wrapped_scan_configINS0_14default_configElEEN6hipcub22TransformInputIteratorIbN2at4cuda3cub12_GLOBAL__N_111CountMaskOpEPKhlEEPlNSC_5SumOpIlEEllNS1_19lookback_scan_stateIlLb1ELb1EEEEEvT2_T3_mT5_T4_T7_jPT6_SS_bb.has_recursion, 0
	.set _ZN7rocprim17ROCPRIM_304000_NS6detail20lookback_scan_kernelILNS1_25lookback_scan_determinismE0ELb1ENS1_19wrapped_scan_configINS0_14default_configElEEN6hipcub22TransformInputIteratorIbN2at4cuda3cub12_GLOBAL__N_111CountMaskOpEPKhlEEPlNSC_5SumOpIlEEllNS1_19lookback_scan_stateIlLb1ELb1EEEEEvT2_T3_mT5_T4_T7_jPT6_SS_bb.has_indirect_call, 0
	.section	.AMDGPU.csdata,"",@progbits
; Kernel info:
; codeLenInByte = 4
; TotalNumSgprs: 6
; NumVgprs: 0
; NumAgprs: 0
; TotalNumVgprs: 0
; ScratchSize: 0
; MemoryBound: 0
; FloatMode: 240
; IeeeMode: 1
; LDSByteSize: 0 bytes/workgroup (compile time only)
; SGPRBlocks: 0
; VGPRBlocks: 0
; NumSGPRsForWavesPerEU: 6
; NumVGPRsForWavesPerEU: 1
; AccumOffset: 4
; Occupancy: 8
; WaveLimiterHint : 0
; COMPUTE_PGM_RSRC2:SCRATCH_EN: 0
; COMPUTE_PGM_RSRC2:USER_SGPR: 2
; COMPUTE_PGM_RSRC2:TRAP_HANDLER: 0
; COMPUTE_PGM_RSRC2:TGID_X_EN: 1
; COMPUTE_PGM_RSRC2:TGID_Y_EN: 0
; COMPUTE_PGM_RSRC2:TGID_Z_EN: 0
; COMPUTE_PGM_RSRC2:TIDIG_COMP_CNT: 0
; COMPUTE_PGM_RSRC3_GFX90A:ACCUM_OFFSET: 0
; COMPUTE_PGM_RSRC3_GFX90A:TG_SPLIT: 0
	.section	.text._ZN7rocprim17ROCPRIM_304000_NS6detail20lookback_scan_kernelILNS1_25lookback_scan_determinismE0ELb1ENS1_19wrapped_scan_configINS0_14default_configElEEN6hipcub22TransformInputIteratorIbN2at4cuda3cub12_GLOBAL__N_111CountMaskOpEPKhlEEPlNSC_5SumOpIlEEllNS1_19lookback_scan_stateIlLb0ELb1EEEEEvT2_T3_mT5_T4_T7_jPT6_SS_bb,"axG",@progbits,_ZN7rocprim17ROCPRIM_304000_NS6detail20lookback_scan_kernelILNS1_25lookback_scan_determinismE0ELb1ENS1_19wrapped_scan_configINS0_14default_configElEEN6hipcub22TransformInputIteratorIbN2at4cuda3cub12_GLOBAL__N_111CountMaskOpEPKhlEEPlNSC_5SumOpIlEEllNS1_19lookback_scan_stateIlLb0ELb1EEEEEvT2_T3_mT5_T4_T7_jPT6_SS_bb,comdat
	.globl	_ZN7rocprim17ROCPRIM_304000_NS6detail20lookback_scan_kernelILNS1_25lookback_scan_determinismE0ELb1ENS1_19wrapped_scan_configINS0_14default_configElEEN6hipcub22TransformInputIteratorIbN2at4cuda3cub12_GLOBAL__N_111CountMaskOpEPKhlEEPlNSC_5SumOpIlEEllNS1_19lookback_scan_stateIlLb0ELb1EEEEEvT2_T3_mT5_T4_T7_jPT6_SS_bb ; -- Begin function _ZN7rocprim17ROCPRIM_304000_NS6detail20lookback_scan_kernelILNS1_25lookback_scan_determinismE0ELb1ENS1_19wrapped_scan_configINS0_14default_configElEEN6hipcub22TransformInputIteratorIbN2at4cuda3cub12_GLOBAL__N_111CountMaskOpEPKhlEEPlNSC_5SumOpIlEEllNS1_19lookback_scan_stateIlLb0ELb1EEEEEvT2_T3_mT5_T4_T7_jPT6_SS_bb
	.p2align	8
	.type	_ZN7rocprim17ROCPRIM_304000_NS6detail20lookback_scan_kernelILNS1_25lookback_scan_determinismE0ELb1ENS1_19wrapped_scan_configINS0_14default_configElEEN6hipcub22TransformInputIteratorIbN2at4cuda3cub12_GLOBAL__N_111CountMaskOpEPKhlEEPlNSC_5SumOpIlEEllNS1_19lookback_scan_stateIlLb0ELb1EEEEEvT2_T3_mT5_T4_T7_jPT6_SS_bb,@function
_ZN7rocprim17ROCPRIM_304000_NS6detail20lookback_scan_kernelILNS1_25lookback_scan_determinismE0ELb1ENS1_19wrapped_scan_configINS0_14default_configElEEN6hipcub22TransformInputIteratorIbN2at4cuda3cub12_GLOBAL__N_111CountMaskOpEPKhlEEPlNSC_5SumOpIlEEllNS1_19lookback_scan_stateIlLb0ELb1EEEEEvT2_T3_mT5_T4_T7_jPT6_SS_bb: ; @_ZN7rocprim17ROCPRIM_304000_NS6detail20lookback_scan_kernelILNS1_25lookback_scan_determinismE0ELb1ENS1_19wrapped_scan_configINS0_14default_configElEEN6hipcub22TransformInputIteratorIbN2at4cuda3cub12_GLOBAL__N_111CountMaskOpEPKhlEEPlNSC_5SumOpIlEEllNS1_19lookback_scan_stateIlLb0ELb1EEEEEvT2_T3_mT5_T4_T7_jPT6_SS_bb
; %bb.0:
	s_load_dword s3, s[0:1], 0x38
	s_load_dwordx2 s[18:19], s[0:1], 0x0
	s_load_dwordx4 s[12:15], s[0:1], 0x10
	s_mul_i32 s16, s2, 0x600
	s_mov_b32 s17, 0
	s_waitcnt lgkmcnt(0)
	s_add_i32 s3, s3, -1
	s_mul_i32 s4, s3, 0x600
	s_sub_u32 s26, s14, s4
	s_subb_u32 s27, s15, 0
	s_cmp_lg_u32 s2, s3
	s_cselect_b64 s[14:15], -1, 0
	s_add_u32 s6, s18, s16
	s_addc_u32 s7, s19, 0
	s_mov_b64 s[4:5], -1
	s_and_b64 vcc, exec, s[14:15]
	v_lshlrev_b32_e32 v26, 3, v0
	s_cbranch_vccz .LBB22_2
; %bb.1:
	global_load_ubyte v1, v0, s[6:7]
	global_load_ubyte v4, v0, s[6:7] offset:256
	global_load_ubyte v6, v0, s[6:7] offset:512
	;; [unrolled: 1-line block ×5, first 2 shown]
	v_mov_b32_e32 v3, s17
	v_mov_b32_e32 v5, s17
	;; [unrolled: 1-line block ×6, first 2 shown]
	s_mov_b64 s[4:5], 0
	s_waitcnt vmcnt(5)
	v_cmp_ne_u16_e32 vcc, 0, v1
	s_nop 1
	v_cndmask_b32_e64 v2, 0, 1, vcc
	s_waitcnt vmcnt(4)
	v_cmp_ne_u16_e32 vcc, 0, v4
	s_nop 1
	v_cndmask_b32_e64 v4, 0, 1, vcc
	;; [unrolled: 4-line block ×6, first 2 shown]
	ds_write2st64_b64 v26, v[2:3], v[4:5] offset1:4
	ds_write2st64_b64 v26, v[6:7], v[8:9] offset0:8 offset1:12
	ds_write2st64_b64 v26, v[10:11], v[12:13] offset0:16 offset1:20
	s_waitcnt lgkmcnt(0)
	s_barrier
.LBB22_2:
	s_load_dwordx2 s[20:21], s[0:1], 0x20
	s_andn2_b64 vcc, exec, s[4:5]
	v_cmp_gt_u32_e64 s[4:5], s26, v0
	s_cbranch_vccnz .LBB22_16
; %bb.3:
	v_mov_b32_e32 v1, 0
	global_load_ubyte v2, v1, s[6:7]
	s_mov_b32 s3, 0
	v_mov_b32_e32 v3, s3
	v_lshl_add_u64 v[14:15], s[6:7], 0, v[0:1]
	v_mov_b32_e32 v5, s3
	v_mov_b32_e32 v9, s3
	;; [unrolled: 1-line block ×4, first 2 shown]
	s_waitcnt vmcnt(0)
	v_cmp_ne_u32_e32 vcc, 0, v2
	s_nop 1
	v_cndmask_b32_e64 v2, 0, 1, vcc
	v_mov_b32_e32 v4, v2
	v_mov_b32_e32 v8, v2
	;; [unrolled: 1-line block ×4, first 2 shown]
	v_mov_b64_e32 v[12:13], v[2:3]
	s_and_saveexec_b64 s[6:7], s[4:5]
	s_cbranch_execz .LBB22_5
; %bb.4:
	global_load_ubyte v1, v[14:15], off
	v_mov_b32_e32 v13, s3
	v_mov_b32_e32 v4, v2
	;; [unrolled: 1-line block ×9, first 2 shown]
	s_waitcnt vmcnt(0)
	v_cmp_ne_u16_e32 vcc, 0, v1
	s_nop 1
	v_cndmask_b32_e64 v12, 0, 1, vcc
.LBB22_5:
	s_or_b64 exec, exec, s[6:7]
	v_or_b32_e32 v1, 0x100, v0
	v_cmp_gt_u32_e32 vcc, s26, v1
	s_and_saveexec_b64 s[4:5], vcc
	s_cbranch_execz .LBB22_7
; %bb.6:
	global_load_ubyte v1, v[14:15], off offset:256
	v_mov_b32_e32 v3, s3
	s_waitcnt vmcnt(0)
	v_cmp_ne_u16_e32 vcc, 0, v1
	s_nop 1
	v_cndmask_b32_e64 v2, 0, 1, vcc
.LBB22_7:
	s_or_b64 exec, exec, s[4:5]
	v_or_b32_e32 v1, 0x200, v0
	v_cmp_gt_u32_e32 vcc, s26, v1
	s_and_saveexec_b64 s[4:5], vcc
	s_cbranch_execz .LBB22_9
; %bb.8:
	global_load_ubyte v1, v[14:15], off offset:512
	v_mov_b32_e32 v5, s3
	s_waitcnt vmcnt(0)
	v_cmp_ne_u16_e32 vcc, 0, v1
	s_nop 1
	v_cndmask_b32_e64 v4, 0, 1, vcc
.LBB22_9:
	;; [unrolled: 13-line block ×5, first 2 shown]
	s_or_b64 exec, exec, s[4:5]
	ds_write2st64_b64 v26, v[12:13], v[2:3] offset1:4
	ds_write2st64_b64 v26, v[4:5], v[8:9] offset0:8 offset1:12
	ds_write2st64_b64 v26, v[6:7], v[10:11] offset0:16 offset1:20
	s_waitcnt lgkmcnt(0)
	s_barrier
.LBB22_16:
	v_mul_u32_u24_e32 v1, 48, v0
	s_load_dwordx2 s[22:23], s[0:1], 0x30
	s_waitcnt lgkmcnt(0)
	ds_read_b128 v[10:13], v1
	ds_read_b128 v[6:9], v1 offset:16
	ds_read_b128 v[2:5], v1 offset:32
	s_cmp_lg_u32 s2, 0
	v_mbcnt_lo_u32_b32 v27, -1, 0
	s_waitcnt lgkmcnt(2)
	v_lshl_add_u64 v[14:15], v[12:13], 0, v[10:11]
	s_waitcnt lgkmcnt(1)
	v_lshl_add_u64 v[28:29], v[14:15], 0, v[6:7]
	s_waitcnt lgkmcnt(0)
	s_barrier
	s_cbranch_scc0 .LBB22_40
; %bb.17:
	v_lshl_add_u64 v[14:15], v[28:29], 0, v[8:9]
	v_lshl_add_u64 v[14:15], v[14:15], 0, v[2:3]
	;; [unrolled: 1-line block ×3, first 2 shown]
	v_mov_b32_e32 v18, 0
	v_mbcnt_hi_u32_b32 v32, -1, v27
	v_mov_b32_dpp v16, v14 row_shr:1 row_mask:0xf bank_mask:0xf
	v_mov_b32_e32 v17, v18
	v_and_b32_e32 v20, 15, v32
	v_mov_b32_dpp v19, v15 row_shr:1 row_mask:0xf bank_mask:0xf
	v_lshl_add_u64 v[16:17], v[14:15], 0, v[16:17]
	v_lshl_add_u64 v[18:19], v[18:19], 0, v[16:17]
	v_cmp_eq_u32_e32 vcc, 0, v20
	v_cmp_eq_u32_e64 s[4:5], 0, v32
	v_cmp_ne_u32_e64 s[6:7], 0, v32
	v_cndmask_b32_e32 v21, v16, v14, vcc
	v_cndmask_b32_e32 v17, v19, v15, vcc
	v_cndmask_b32_e32 v16, v18, v14, vcc
	v_mov_b32_dpp v18, v21 row_shr:2 row_mask:0xf bank_mask:0xf
	v_mov_b32_dpp v19, v17 row_shr:2 row_mask:0xf bank_mask:0xf
	v_lshl_add_u64 v[18:19], v[18:19], 0, v[16:17]
	v_cmp_lt_u32_e32 vcc, 1, v20
	s_nop 1
	v_cndmask_b32_e32 v21, v21, v18, vcc
	v_cndmask_b32_e32 v17, v17, v19, vcc
	v_cndmask_b32_e32 v16, v16, v18, vcc
	v_mov_b32_dpp v18, v21 row_shr:4 row_mask:0xf bank_mask:0xf
	v_mov_b32_dpp v19, v17 row_shr:4 row_mask:0xf bank_mask:0xf
	v_lshl_add_u64 v[18:19], v[18:19], 0, v[16:17]
	v_cmp_lt_u32_e32 vcc, 3, v20
	s_nop 1
	;; [unrolled: 8-line block ×3, first 2 shown]
	v_cndmask_b32_e32 v20, v21, v18, vcc
	v_cndmask_b32_e32 v17, v17, v19, vcc
	;; [unrolled: 1-line block ×3, first 2 shown]
	v_mov_b32_dpp v18, v20 row_bcast:15 row_mask:0xf bank_mask:0xf
	v_mov_b32_dpp v19, v17 row_bcast:15 row_mask:0xf bank_mask:0xf
	v_and_b32_e32 v21, 16, v32
	v_lshl_add_u64 v[18:19], v[18:19], 0, v[16:17]
	v_cmp_eq_u32_e32 vcc, 0, v21
	s_nop 1
	v_cndmask_b32_e32 v21, v19, v17, vcc
	v_cndmask_b32_e32 v20, v18, v20, vcc
	s_nop 0
	v_mov_b32_dpp v21, v21 row_bcast:31 row_mask:0xf bank_mask:0xf
	v_mov_b32_dpp v20, v20 row_bcast:31 row_mask:0xf bank_mask:0xf
	s_and_saveexec_b64 s[8:9], s[6:7]
; %bb.18:
	v_cndmask_b32_e32 v15, v19, v17, vcc
	v_cndmask_b32_e32 v14, v18, v16, vcc
	v_cmp_lt_u32_e32 vcc, 31, v32
	s_nop 1
	v_cndmask_b32_e32 v17, 0, v21, vcc
	v_cndmask_b32_e32 v16, 0, v20, vcc
	v_lshl_add_u64 v[14:15], v[16:17], 0, v[14:15]
; %bb.19:
	s_or_b64 exec, exec, s[8:9]
	v_or_b32_e32 v17, 63, v0
	v_lshrrev_b32_e32 v16, 6, v0
	v_cmp_eq_u32_e32 vcc, v0, v17
	s_and_saveexec_b64 s[6:7], vcc
; %bb.20:
	v_lshlrev_b32_e32 v17, 3, v16
	ds_write_b64 v17, v[14:15]
; %bb.21:
	s_or_b64 exec, exec, s[6:7]
	v_cmp_gt_u32_e32 vcc, 4, v0
	s_waitcnt lgkmcnt(0)
	s_barrier
	s_and_saveexec_b64 s[6:7], vcc
	s_cbranch_execz .LBB22_23
; %bb.22:
	ds_read_b64 v[18:19], v26
	v_mov_b32_e32 v20, 0
	v_mov_b32_e32 v23, v20
	v_and_b32_e32 v17, 3, v32
	v_cmp_eq_u32_e32 vcc, 0, v17
	s_waitcnt lgkmcnt(0)
	v_mov_b32_dpp v22, v18 row_shr:1 row_mask:0xf bank_mask:0xf
	v_mov_b32_dpp v21, v19 row_shr:1 row_mask:0xf bank_mask:0xf
	v_lshl_add_u64 v[22:23], v[18:19], 0, v[22:23]
	v_lshl_add_u64 v[20:21], v[20:21], 0, v[22:23]
	v_cndmask_b32_e32 v21, v21, v19, vcc
	v_cndmask_b32_e32 v20, v20, v18, vcc
	;; [unrolled: 1-line block ×3, first 2 shown]
	v_mov_b32_dpp v19, v21 row_shr:2 row_mask:0xf bank_mask:0xf
	v_cmp_lt_u32_e32 vcc, 1, v17
	v_mov_b32_dpp v18, v18 row_shr:2 row_mask:0xf bank_mask:0xf
	s_nop 0
	v_cndmask_b32_e32 v18, 0, v18, vcc
	v_cndmask_b32_e32 v19, 0, v19, vcc
	v_lshl_add_u64 v[18:19], v[18:19], 0, v[20:21]
	ds_write_b64 v26, v[18:19]
.LBB22_23:
	s_or_b64 exec, exec, s[6:7]
	v_cmp_gt_u32_e32 vcc, 64, v0
	v_cmp_lt_u32_e64 s[6:7], 63, v0
	s_waitcnt lgkmcnt(0)
	s_barrier
                                        ; implicit-def: $vgpr22_vgpr23
	s_and_saveexec_b64 s[8:9], s[6:7]
	s_cbranch_execz .LBB22_25
; %bb.24:
	v_lshl_add_u32 v16, v16, 3, -8
	ds_read_b64 v[22:23], v16
	s_waitcnt lgkmcnt(0)
	v_lshl_add_u64 v[14:15], v[22:23], 0, v[14:15]
.LBB22_25:
	s_or_b64 exec, exec, s[8:9]
	v_add_u32_e32 v16, -1, v32
	v_and_b32_e32 v17, 64, v32
	v_cmp_lt_i32_e64 s[6:7], v16, v17
	s_nop 1
	v_cndmask_b32_e64 v16, v16, v32, s[6:7]
	v_lshlrev_b32_e32 v16, 2, v16
	ds_bpermute_b32 v35, v16, v14
	ds_bpermute_b32 v34, v16, v15
	s_and_saveexec_b64 s[24:25], vcc
	s_cbranch_execz .LBB22_45
; %bb.26:
	v_mov_b32_e32 v17, 0
	ds_read_b64 v[14:15], v17 offset:24
	s_and_saveexec_b64 s[6:7], s[4:5]
	s_cbranch_execz .LBB22_28
; %bb.27:
	s_add_i32 s8, s2, 64
	s_mov_b32 s9, 0
	s_lshl_b64 s[8:9], s[8:9], 4
	s_add_u32 s8, s22, s8
	s_addc_u32 s9, s23, s9
	v_mov_b32_e32 v16, 1
	v_mov_b64_e32 v[18:19], s[8:9]
	s_waitcnt lgkmcnt(0)
	;;#ASMSTART
	global_store_dwordx4 v[18:19], v[14:17] off sc1	
s_waitcnt vmcnt(0)
	;;#ASMEND
.LBB22_28:
	s_or_b64 exec, exec, s[6:7]
	v_xad_u32 v24, v32, -1, s2
	v_add_u32_e32 v16, 64, v24
	v_lshl_add_u64 v[30:31], v[16:17], 4, s[22:23]
	;;#ASMSTART
	global_load_dwordx4 v[18:21], v[30:31] off sc1	
s_waitcnt vmcnt(0)
	;;#ASMEND
	s_nop 0
	v_cmp_eq_u16_sdwa s[8:9], v20, v17 src0_sel:BYTE_0 src1_sel:DWORD
	s_and_saveexec_b64 s[6:7], s[8:9]
	s_cbranch_execz .LBB22_32
; %bb.29:
	s_mov_b64 s[8:9], 0
	v_mov_b32_e32 v16, 0
.LBB22_30:                              ; =>This Inner Loop Header: Depth=1
	;;#ASMSTART
	global_load_dwordx4 v[18:21], v[30:31] off sc1	
s_waitcnt vmcnt(0)
	;;#ASMEND
	s_nop 0
	v_cmp_ne_u16_sdwa s[10:11], v20, v16 src0_sel:BYTE_0 src1_sel:DWORD
	s_or_b64 s[8:9], s[10:11], s[8:9]
	s_andn2_b64 exec, exec, s[8:9]
	s_cbranch_execnz .LBB22_30
; %bb.31:
	s_or_b64 exec, exec, s[8:9]
.LBB22_32:
	s_or_b64 exec, exec, s[6:7]
	v_mov_b32_e32 v36, 2
	v_cmp_eq_u16_sdwa s[6:7], v20, v36 src0_sel:BYTE_0 src1_sel:DWORD
	v_lshlrev_b64 v[16:17], v32, -1
	v_and_b32_e32 v33, 63, v32
	v_and_b32_e32 v21, s7, v17
	v_or_b32_e32 v21, 0x80000000, v21
	v_and_b32_e32 v25, s6, v16
	v_ffbl_b32_e32 v21, v21
	v_add_u32_e32 v21, 32, v21
	v_ffbl_b32_e32 v25, v25
	v_cmp_ne_u32_e32 vcc, 63, v33
	v_min_u32_e32 v21, v25, v21
	v_add_u32_e32 v38, 1, v32
	v_addc_co_u32_e32 v25, vcc, 0, v32, vcc
	v_lshlrev_b32_e32 v37, 2, v25
	ds_bpermute_b32 v30, v37, v18
	ds_bpermute_b32 v41, v37, v19
	v_mov_b32_e32 v25, 0
	v_mov_b32_e32 v31, v25
	;; [unrolled: 1-line block ×3, first 2 shown]
	s_waitcnt lgkmcnt(1)
	v_lshl_add_u64 v[30:31], v[18:19], 0, v[30:31]
	v_cmp_le_u32_e32 vcc, v38, v21
	v_cmp_gt_u32_e64 s[6:7], 62, v33
	s_waitcnt lgkmcnt(0)
	v_lshl_add_u64 v[40:41], v[40:41], 0, v[30:31]
	v_cndmask_b32_e32 v44, v18, v30, vcc
	v_cndmask_b32_e64 v30, 0, 2, s[6:7]
	v_cndmask_b32_e32 v31, v19, v41, vcc
	v_add_lshl_u32 v39, v30, v32, 2
	ds_bpermute_b32 v42, v39, v44
	ds_bpermute_b32 v43, v39, v31
	v_cndmask_b32_e32 v30, v18, v40, vcc
	v_add_u32_e32 v40, 2, v32
	v_cmp_gt_u32_e64 s[8:9], 60, v33
	v_cmp_le_u32_e64 s[6:7], v40, v21
	s_waitcnt lgkmcnt(0)
	v_lshl_add_u64 v[42:43], v[42:43], 0, v[30:31]
	v_cndmask_b32_e64 v41, 0, 4, s[8:9]
	v_cndmask_b32_e64 v46, v44, v42, s[6:7]
	;; [unrolled: 1-line block ×3, first 2 shown]
	v_add_lshl_u32 v41, v41, v32, 2
	ds_bpermute_b32 v44, v41, v46
	ds_bpermute_b32 v45, v41, v31
	v_cndmask_b32_e64 v30, v30, v42, s[6:7]
	v_add_u32_e32 v42, 4, v32
	v_cmp_gt_u32_e64 s[10:11], 56, v33
	v_cmp_le_u32_e64 s[8:9], v42, v21
	s_waitcnt lgkmcnt(0)
	v_lshl_add_u64 v[44:45], v[44:45], 0, v[30:31]
	v_cndmask_b32_e64 v43, 0, 8, s[10:11]
	v_cndmask_b32_e64 v48, v46, v44, s[8:9]
	;; [unrolled: 1-line block ×3, first 2 shown]
	v_add_lshl_u32 v43, v43, v32, 2
	ds_bpermute_b32 v46, v43, v48
	ds_bpermute_b32 v47, v43, v31
	s_or_b64 s[10:11], vcc, s[6:7]
	v_cndmask_b32_e64 v30, v30, v44, s[8:9]
	v_add_u32_e32 v44, 8, v32
	v_cmp_gt_u32_e64 s[6:7], 48, v33
	s_waitcnt lgkmcnt(0)
	v_lshl_add_u64 v[46:47], v[46:47], 0, v[30:31]
	v_cmp_le_u32_e32 vcc, v44, v21
	v_cndmask_b32_e64 v33, 0, 16, s[6:7]
	v_add_lshl_u32 v45, v33, v32, 2
	v_cndmask_b32_e32 v52, v48, v46, vcc
	v_cndmask_b32_e32 v31, v31, v47, vcc
	ds_bpermute_b32 v48, v45, v52
	ds_bpermute_b32 v49, v45, v31
	s_or_b64 s[6:7], s[8:9], s[10:11]
	v_cndmask_b32_e32 v30, v30, v46, vcc
	v_add_u32_e32 v46, 16, v32
	s_or_b64 s[6:7], vcc, s[6:7]
	s_waitcnt lgkmcnt(0)
	v_lshl_add_u64 v[50:51], v[48:49], 0, v[30:31]
	v_cmp_le_u32_e32 vcc, v46, v21
	v_mov_b32_e32 v47, 0x80
	v_lshl_or_b32 v47, v32, 2, v47
	v_cndmask_b32_e32 v33, v52, v50, vcc
	v_cndmask_b32_e32 v31, v31, v51, vcc
	ds_bpermute_b32 v49, v47, v31
	ds_bpermute_b32 v51, v47, v33
	v_add_u32_e32 v48, 32, v32
	s_or_b64 s[6:7], vcc, s[6:7]
	v_cndmask_b32_e32 v30, v30, v50, vcc
	v_cmp_le_u32_e32 vcc, v48, v21
	s_waitcnt lgkmcnt(1)
	s_nop 0
	v_cndmask_b32_e32 v33, 0, v49, vcc
	s_waitcnt lgkmcnt(0)
	v_cndmask_b32_e32 v32, 0, v51, vcc
	v_lshl_add_u64 v[30:31], v[32:33], 0, v[30:31]
	s_or_b64 vcc, vcc, s[6:7]
	v_cndmask_b32_e32 v19, v19, v31, vcc
	v_cndmask_b32_e32 v18, v18, v30, vcc
	s_branch .LBB22_36
.LBB22_33:                              ;   in Loop: Header=BB22_36 Depth=1
	s_or_b64 exec, exec, s[8:9]
.LBB22_34:                              ;   in Loop: Header=BB22_36 Depth=1
	s_or_b64 exec, exec, s[6:7]
	v_cmp_eq_u16_sdwa s[6:7], v20, v36 src0_sel:BYTE_0 src1_sel:DWORD
	v_subrev_u32_e32 v21, 64, v24
	ds_bpermute_b32 v33, v37, v19
	v_and_b32_e32 v24, s7, v17
	v_or_b32_e32 v24, 0x80000000, v24
	v_ffbl_b32_e32 v24, v24
	v_add_u32_e32 v49, 32, v24
	ds_bpermute_b32 v24, v37, v18
	v_and_b32_e32 v32, s6, v16
	v_ffbl_b32_e32 v32, v32
	v_min_u32_e32 v49, v32, v49
	v_mov_b32_e32 v32, v25
	s_waitcnt lgkmcnt(0)
	v_lshl_add_u64 v[50:51], v[18:19], 0, v[24:25]
	v_lshl_add_u64 v[32:33], v[32:33], 0, v[50:51]
	v_cmp_le_u32_e32 vcc, v38, v49
	v_cmp_le_u32_e64 s[6:7], v40, v49
	v_cmp_le_u32_e64 s[8:9], v42, v49
	v_cndmask_b32_e32 v24, v18, v50, vcc
	v_cndmask_b32_e32 v33, v19, v33, vcc
	ds_bpermute_b32 v50, v39, v24
	ds_bpermute_b32 v51, v39, v33
	v_cndmask_b32_e32 v32, v18, v32, vcc
	v_cmp_le_u32_e64 s[10:11], v44, v49
	s_waitcnt lgkmcnt(0)
	v_lshl_add_u64 v[50:51], v[50:51], 0, v[32:33]
	v_cndmask_b32_e64 v24, v24, v50, s[6:7]
	v_cndmask_b32_e64 v33, v33, v51, s[6:7]
	ds_bpermute_b32 v52, v41, v24
	ds_bpermute_b32 v53, v41, v33
	v_cndmask_b32_e64 v32, v32, v50, s[6:7]
	s_or_b64 s[6:7], vcc, s[6:7]
	v_cmp_le_u32_e32 vcc, v46, v49
	s_or_b64 s[6:7], s[8:9], s[6:7]
	s_waitcnt lgkmcnt(0)
	v_lshl_add_u64 v[50:51], v[52:53], 0, v[32:33]
	v_cndmask_b32_e64 v24, v24, v50, s[8:9]
	v_cndmask_b32_e64 v33, v33, v51, s[8:9]
	ds_bpermute_b32 v52, v43, v24
	ds_bpermute_b32 v53, v43, v33
	v_cndmask_b32_e64 v32, v32, v50, s[8:9]
	s_or_b64 s[6:7], s[10:11], s[6:7]
	s_or_b64 s[6:7], vcc, s[6:7]
	s_waitcnt lgkmcnt(0)
	v_lshl_add_u64 v[50:51], v[52:53], 0, v[32:33]
	v_cndmask_b32_e64 v24, v24, v50, s[10:11]
	v_cndmask_b32_e64 v33, v33, v51, s[10:11]
	ds_bpermute_b32 v52, v45, v24
	ds_bpermute_b32 v53, v45, v33
	v_cndmask_b32_e64 v32, v32, v50, s[10:11]
	s_waitcnt lgkmcnt(0)
	v_lshl_add_u64 v[50:51], v[52:53], 0, v[32:33]
	v_cndmask_b32_e32 v24, v24, v50, vcc
	v_cndmask_b32_e32 v33, v33, v51, vcc
	ds_bpermute_b32 v51, v47, v33
	ds_bpermute_b32 v24, v47, v24
	v_cndmask_b32_e32 v32, v32, v50, vcc
	v_cmp_le_u32_e32 vcc, v48, v49
	s_waitcnt lgkmcnt(1)
	s_nop 0
	v_cndmask_b32_e32 v51, 0, v51, vcc
	s_waitcnt lgkmcnt(0)
	v_cndmask_b32_e32 v50, 0, v24, vcc
	v_lshl_add_u64 v[32:33], v[50:51], 0, v[32:33]
	s_or_b64 vcc, vcc, s[6:7]
	v_cndmask_b32_e32 v19, v19, v33, vcc
	v_cndmask_b32_e32 v18, v18, v32, vcc
	v_lshl_add_u64 v[18:19], v[18:19], 0, v[30:31]
	s_mov_b64 s[6:7], 0
	v_mov_b32_e32 v24, v21
.LBB22_35:                              ;   in Loop: Header=BB22_36 Depth=1
	s_and_b64 vcc, exec, s[6:7]
	s_cbranch_vccnz .LBB22_41
.LBB22_36:                              ; =>This Loop Header: Depth=1
                                        ;     Child Loop BB22_39 Depth 2
	v_cmp_ne_u16_sdwa s[6:7], v20, v36 src0_sel:BYTE_0 src1_sel:DWORD
	v_mov_b64_e32 v[30:31], v[18:19]
	s_cmp_lg_u64 s[6:7], exec
	s_mov_b64 s[6:7], -1
                                        ; implicit-def: $vgpr18_vgpr19
                                        ; implicit-def: $vgpr20
	s_cbranch_scc1 .LBB22_35
; %bb.37:                               ;   in Loop: Header=BB22_36 Depth=1
	v_lshl_add_u64 v[32:33], v[24:25], 4, s[22:23]
	;;#ASMSTART
	global_load_dwordx4 v[18:21], v[32:33] off sc1	
s_waitcnt vmcnt(0)
	;;#ASMEND
	s_nop 0
	v_cmp_eq_u16_sdwa s[8:9], v20, v25 src0_sel:BYTE_0 src1_sel:DWORD
	s_and_saveexec_b64 s[6:7], s[8:9]
	s_cbranch_execz .LBB22_34
; %bb.38:                               ;   in Loop: Header=BB22_36 Depth=1
	s_mov_b64 s[8:9], 0
.LBB22_39:                              ;   Parent Loop BB22_36 Depth=1
                                        ; =>  This Inner Loop Header: Depth=2
	;;#ASMSTART
	global_load_dwordx4 v[18:21], v[32:33] off sc1	
s_waitcnt vmcnt(0)
	;;#ASMEND
	s_nop 0
	v_cmp_ne_u16_sdwa s[10:11], v20, v25 src0_sel:BYTE_0 src1_sel:DWORD
	s_or_b64 s[8:9], s[10:11], s[8:9]
	s_andn2_b64 exec, exec, s[8:9]
	s_cbranch_execnz .LBB22_39
	s_branch .LBB22_33
.LBB22_40:
                                        ; implicit-def: $vgpr16_vgpr17
                                        ; implicit-def: $vgpr20_vgpr21
                                        ; implicit-def: $vgpr24_vgpr25
	s_load_dwordx4 s[4:7], s[0:1], 0x40
	s_cbranch_execnz .LBB22_46
	s_branch .LBB22_59
.LBB22_41:
	s_and_saveexec_b64 s[6:7], s[4:5]
	s_cbranch_execz .LBB22_43
; %bb.42:
	s_add_i32 s2, s2, 64
	s_mov_b32 s3, 0
	s_lshl_b64 s[2:3], s[2:3], 4
	s_add_u32 s2, s22, s2
	s_addc_u32 s3, s23, s3
	v_lshl_add_u64 v[14:15], v[30:31], 0, v[14:15]
	v_mov_b32_e32 v16, 2
	v_mov_b32_e32 v17, 0
	v_mov_b64_e32 v[18:19], s[2:3]
	;;#ASMSTART
	global_store_dwordx4 v[18:19], v[14:17] off sc1	
s_waitcnt vmcnt(0)
	;;#ASMEND
.LBB22_43:
	s_or_b64 exec, exec, s[6:7]
	v_cmp_eq_u32_e32 vcc, 0, v0
	s_and_b64 exec, exec, vcc
; %bb.44:
	v_mov_b32_e32 v14, 0
	ds_write_b64 v14, v[30:31] offset:24
.LBB22_45:
	s_or_b64 exec, exec, s[24:25]
	v_mov_b32_e32 v14, 0
	s_waitcnt lgkmcnt(0)
	s_barrier
	ds_read_b64 v[14:15], v14 offset:24
	v_cndmask_b32_e64 v16, v35, v22, s[4:5]
	v_cndmask_b32_e64 v17, v34, v23, s[4:5]
	v_cmp_ne_u32_e32 vcc, 0, v0
	s_nop 1
	v_cndmask_b32_e32 v17, 0, v17, vcc
	v_cndmask_b32_e32 v16, 0, v16, vcc
	s_waitcnt lgkmcnt(0)
	v_lshl_add_u64 v[22:23], v[14:15], 0, v[16:17]
	v_lshl_add_u64 v[24:25], v[22:23], 0, v[10:11]
	;; [unrolled: 1-line block ×6, first 2 shown]
	s_load_dwordx4 s[4:7], s[0:1], 0x40
	s_branch .LBB22_59
.LBB22_46:
	s_load_dword s2, s[0:1], 0x50
	v_mov_b64_e32 v[16:17], s[20:21]
	s_waitcnt lgkmcnt(0)
	s_bitcmp0_b32 s2, 0
	s_mov_b32 s2, 0
	s_cbranch_scc1 .LBB22_48
; %bb.47:
	v_mov_b32_e32 v16, 0
	global_load_ubyte v17, v16, s[18:19] offset:-1
	global_load_dwordx2 v[14:15], v16, s[4:5]
	s_waitcnt vmcnt(1)
	v_cmp_ne_u32_e32 vcc, 0, v17
	s_nop 1
	v_cndmask_b32_e64 v16, 0, 1, vcc
	v_mov_b32_e32 v17, s2
	s_waitcnt vmcnt(0)
	v_lshl_add_u64 v[16:17], v[14:15], 0, v[16:17]
.LBB22_48:
	v_lshl_add_u64 v[14:15], v[28:29], 0, v[8:9]
	v_lshl_add_u64 v[14:15], v[14:15], 0, v[2:3]
	;; [unrolled: 1-line block ×3, first 2 shown]
	v_mov_b32_e32 v18, 0
	v_mbcnt_hi_u32_b32 v20, -1, v27
	v_mov_b32_dpp v14, v4 row_shr:1 row_mask:0xf bank_mask:0xf
	v_mov_b32_e32 v15, v18
	v_and_b32_e32 v21, 15, v20
	v_mov_b32_dpp v19, v5 row_shr:1 row_mask:0xf bank_mask:0xf
	v_lshl_add_u64 v[14:15], v[4:5], 0, v[14:15]
	v_lshl_add_u64 v[18:19], v[18:19], 0, v[14:15]
	v_cmp_eq_u32_e32 vcc, 0, v21
	v_cmp_ne_u32_e64 s[4:5], 0, v20
	s_nop 0
	v_cndmask_b32_e32 v22, v14, v4, vcc
	v_cndmask_b32_e32 v15, v19, v5, vcc
	v_cndmask_b32_e32 v14, v18, v4, vcc
	v_mov_b32_dpp v18, v22 row_shr:2 row_mask:0xf bank_mask:0xf
	v_mov_b32_dpp v19, v15 row_shr:2 row_mask:0xf bank_mask:0xf
	v_lshl_add_u64 v[18:19], v[18:19], 0, v[14:15]
	v_cmp_lt_u32_e32 vcc, 1, v21
	s_nop 1
	v_cndmask_b32_e32 v22, v22, v18, vcc
	v_cndmask_b32_e32 v15, v15, v19, vcc
	v_cndmask_b32_e32 v14, v14, v18, vcc
	v_mov_b32_dpp v18, v22 row_shr:4 row_mask:0xf bank_mask:0xf
	v_mov_b32_dpp v19, v15 row_shr:4 row_mask:0xf bank_mask:0xf
	v_lshl_add_u64 v[18:19], v[18:19], 0, v[14:15]
	v_cmp_lt_u32_e32 vcc, 3, v21
	s_nop 1
	v_cndmask_b32_e32 v22, v22, v18, vcc
	v_cndmask_b32_e32 v15, v15, v19, vcc
	v_cndmask_b32_e32 v14, v14, v18, vcc
	v_mov_b32_dpp v18, v22 row_shr:8 row_mask:0xf bank_mask:0xf
	v_mov_b32_dpp v19, v15 row_shr:8 row_mask:0xf bank_mask:0xf
	v_lshl_add_u64 v[18:19], v[18:19], 0, v[14:15]
	v_cmp_lt_u32_e32 vcc, 7, v21
	s_nop 1
	v_cndmask_b32_e32 v21, v22, v18, vcc
	v_cndmask_b32_e32 v15, v15, v19, vcc
	v_cndmask_b32_e32 v14, v14, v18, vcc
	v_mov_b32_dpp v18, v21 row_bcast:15 row_mask:0xf bank_mask:0xf
	v_mov_b32_dpp v19, v15 row_bcast:15 row_mask:0xf bank_mask:0xf
	v_and_b32_e32 v22, 16, v20
	v_lshl_add_u64 v[18:19], v[18:19], 0, v[14:15]
	v_cmp_eq_u32_e64 s[2:3], 0, v22
	v_cmp_eq_u32_e32 vcc, 0, v20
	s_nop 0
	v_cndmask_b32_e64 v22, v19, v15, s[2:3]
	v_cndmask_b32_e64 v21, v18, v21, s[2:3]
	s_nop 0
	v_mov_b32_dpp v22, v22 row_bcast:31 row_mask:0xf bank_mask:0xf
	v_mov_b32_dpp v21, v21 row_bcast:31 row_mask:0xf bank_mask:0xf
	s_and_saveexec_b64 s[8:9], s[4:5]
; %bb.49:
	v_cndmask_b32_e64 v5, v19, v15, s[2:3]
	v_cndmask_b32_e64 v4, v18, v14, s[2:3]
	v_cmp_lt_u32_e64 s[2:3], 31, v20
	s_nop 1
	v_cndmask_b32_e64 v15, 0, v22, s[2:3]
	v_cndmask_b32_e64 v14, 0, v21, s[2:3]
	v_lshl_add_u64 v[4:5], v[14:15], 0, v[4:5]
; %bb.50:
	s_or_b64 exec, exec, s[8:9]
	v_or_b32_e32 v14, 63, v0
	v_lshrrev_b32_e32 v18, 6, v0
	v_cmp_eq_u32_e64 s[2:3], v0, v14
	s_and_saveexec_b64 s[4:5], s[2:3]
; %bb.51:
	v_lshlrev_b32_e32 v14, 3, v18
	ds_write_b64 v14, v[4:5]
; %bb.52:
	s_or_b64 exec, exec, s[4:5]
	v_cmp_gt_u32_e64 s[2:3], 4, v0
	s_waitcnt lgkmcnt(0)
	s_barrier
	s_and_saveexec_b64 s[4:5], s[2:3]
	s_cbranch_execz .LBB22_54
; %bb.53:
	s_movk_i32 s2, 0xffd8
	v_mad_i32_i24 v19, v0, s2, v1
	ds_read_b64 v[14:15], v19
	v_mov_b32_e32 v22, 0
	v_mov_b32_e32 v25, v22
	v_and_b32_e32 v21, 3, v20
	v_cmp_eq_u32_e64 s[2:3], 0, v21
	s_waitcnt lgkmcnt(0)
	v_mov_b32_dpp v24, v14 row_shr:1 row_mask:0xf bank_mask:0xf
	v_mov_b32_dpp v23, v15 row_shr:1 row_mask:0xf bank_mask:0xf
	v_lshl_add_u64 v[24:25], v[14:15], 0, v[24:25]
	v_lshl_add_u64 v[22:23], v[22:23], 0, v[24:25]
	v_cndmask_b32_e64 v23, v23, v15, s[2:3]
	v_cndmask_b32_e64 v22, v22, v14, s[2:3]
	;; [unrolled: 1-line block ×3, first 2 shown]
	v_mov_b32_dpp v15, v23 row_shr:2 row_mask:0xf bank_mask:0xf
	v_cmp_lt_u32_e64 s[2:3], 1, v21
	v_mov_b32_dpp v14, v14 row_shr:2 row_mask:0xf bank_mask:0xf
	s_nop 0
	v_cndmask_b32_e64 v14, 0, v14, s[2:3]
	v_cndmask_b32_e64 v15, 0, v15, s[2:3]
	v_lshl_add_u64 v[14:15], v[14:15], 0, v[22:23]
	ds_write_b64 v19, v[14:15]
.LBB22_54:
	s_or_b64 exec, exec, s[4:5]
	v_cmp_lt_u32_e64 s[2:3], 63, v0
	v_mov_b64_e32 v[14:15], v[16:17]
	s_waitcnt lgkmcnt(0)
	s_barrier
	s_and_saveexec_b64 s[4:5], s[2:3]
	s_cbranch_execz .LBB22_56
; %bb.55:
	v_lshl_add_u32 v14, v18, 3, -8
	ds_read_b64 v[14:15], v14
	s_waitcnt lgkmcnt(0)
	v_lshl_add_u64 v[14:15], v[14:15], 0, v[16:17]
.LBB22_56:
	s_or_b64 exec, exec, s[4:5]
	v_add_u32_e32 v18, -1, v20
	v_and_b32_e32 v19, 64, v20
	v_cmp_lt_i32_e64 s[2:3], v18, v19
	v_lshl_add_u64 v[4:5], v[14:15], 0, v[4:5]
	s_nop 0
	v_cndmask_b32_e64 v18, v18, v20, s[2:3]
	v_lshlrev_b32_e32 v18, 2, v18
	ds_bpermute_b32 v4, v18, v4
	ds_bpermute_b32 v5, v18, v5
	s_waitcnt lgkmcnt(1)
	v_cndmask_b32_e32 v4, v4, v14, vcc
	s_waitcnt lgkmcnt(0)
	v_cndmask_b32_e32 v5, v5, v15, vcc
	v_cmp_eq_u32_e32 vcc, 0, v0
	s_nop 1
	v_cndmask_b32_e32 v23, v5, v17, vcc
	v_cndmask_b32_e32 v22, v4, v16, vcc
	v_lshl_add_u64 v[24:25], v[22:23], 0, v[10:11]
	v_lshl_add_u64 v[18:19], v[24:25], 0, v[12:13]
	;; [unrolled: 1-line block ×4, first 2 shown]
	s_and_saveexec_b64 s[2:3], vcc
	s_cbranch_execz .LBB22_58
; %bb.57:
	v_mov_b32_e32 v7, 0
	ds_read_b64 v[4:5], v7 offset:24
	s_add_u32 s4, s22, 0x400
	s_addc_u32 s5, s23, 0
	v_mov_b32_e32 v6, 2
	v_mov_b64_e32 v[8:9], s[4:5]
	s_waitcnt lgkmcnt(0)
	v_lshl_add_u64 v[4:5], v[4:5], 0, v[16:17]
	;;#ASMSTART
	global_store_dwordx4 v[8:9], v[4:7] off sc1	
s_waitcnt vmcnt(0)
	;;#ASMEND
.LBB22_58:
	s_or_b64 exec, exec, s[2:3]
	v_lshl_add_u64 v[16:17], v[14:15], 0, v[2:3]
.LBB22_59:
	s_lshl_b64 s[2:3], s[16:17], 3
	s_add_u32 s2, s12, s2
	s_addc_u32 s3, s13, s3
	s_waitcnt lgkmcnt(0)
	s_mov_b64 s[4:5], -1
	s_and_b64 vcc, exec, s[14:15]
	s_barrier
	s_cbranch_vccz .LBB22_61
; %bb.60:
	ds_write_b128 v1, v[22:25]
	ds_write_b128 v1, v[18:21] offset:16
	ds_write_b128 v1, v[14:17] offset:32
	s_waitcnt lgkmcnt(0)
	s_barrier
	ds_read2st64_b64 v[2:5], v26 offset1:4
	ds_read2st64_b64 v[6:9], v26 offset0:8 offset1:12
	ds_read2st64_b64 v[10:13], v26 offset0:16 offset1:20
	v_mov_b32_e32 v27, 0
	v_lshl_add_u64 v[28:29], s[2:3], 0, v[26:27]
	s_waitcnt lgkmcnt(2)
	global_store_dwordx2 v26, v[2:3], s[2:3]
	global_store_dwordx2 v26, v[4:5], s[2:3] offset:2048
	v_add_co_u32_e32 v2, vcc, 0x1000, v28
	s_mov_b64 s[4:5], 0
	s_nop 0
	v_addc_co_u32_e32 v3, vcc, 0, v29, vcc
	s_waitcnt lgkmcnt(1)
	global_store_dwordx2 v[2:3], v[6:7], off
	global_store_dwordx2 v[2:3], v[8:9], off offset:2048
	v_add_co_u32_e32 v2, vcc, 0x2000, v28
	s_nop 1
	v_addc_co_u32_e32 v3, vcc, 0, v29, vcc
	s_waitcnt lgkmcnt(0)
	global_store_dwordx2 v[2:3], v[10:11], off
	global_store_dwordx2 v[2:3], v[12:13], off offset:2048
.LBB22_61:
	s_andn2_b64 vcc, exec, s[4:5]
	s_cbranch_vccnz .LBB22_94
; %bb.62:
	ds_write_b128 v1, v[22:25]
	ds_write_b128 v1, v[18:21] offset:16
	ds_write_b128 v1, v[14:17] offset:32
	s_waitcnt lgkmcnt(0)
	s_barrier
	ds_read2st64_b64 v[4:7], v26 offset1:4
	ds_read2st64_b64 v[8:11], v26 offset0:8 offset1:12
	ds_read2st64_b64 v[12:15], v26 offset0:16 offset1:20
	v_mov_b32_e32 v27, 0
	v_lshl_add_u64 v[2:3], s[2:3], 0, v[26:27]
	v_cmp_gt_u32_e32 vcc, s26, v0
	s_and_saveexec_b64 s[2:3], vcc
	s_cbranch_execz .LBB22_64
; %bb.63:
	s_waitcnt lgkmcnt(2)
	global_store_dwordx2 v[2:3], v[4:5], off
.LBB22_64:
	s_or_b64 exec, exec, s[2:3]
	v_or_b32_e32 v1, 0x100, v0
	v_cmp_gt_u32_e32 vcc, s26, v1
	s_and_saveexec_b64 s[2:3], vcc
	s_cbranch_execz .LBB22_66
; %bb.65:
	s_waitcnt lgkmcnt(2)
	global_store_dwordx2 v[2:3], v[6:7], off offset:2048
.LBB22_66:
	s_or_b64 exec, exec, s[2:3]
	v_or_b32_e32 v1, 0x200, v0
	v_cmp_gt_u32_e32 vcc, s26, v1
	s_and_saveexec_b64 s[2:3], vcc
	s_cbranch_execz .LBB22_68
; %bb.67:
	v_add_co_u32_e32 v16, vcc, 0x1000, v2
	s_nop 1
	v_addc_co_u32_e32 v17, vcc, 0, v3, vcc
	s_waitcnt lgkmcnt(1)
	global_store_dwordx2 v[16:17], v[8:9], off
.LBB22_68:
	s_or_b64 exec, exec, s[2:3]
	v_or_b32_e32 v1, 0x300, v0
	v_cmp_gt_u32_e32 vcc, s26, v1
	s_and_saveexec_b64 s[2:3], vcc
	s_cbranch_execz .LBB22_70
; %bb.69:
	v_add_co_u32_e32 v16, vcc, 0x1000, v2
	s_nop 1
	v_addc_co_u32_e32 v17, vcc, 0, v3, vcc
	s_waitcnt lgkmcnt(1)
	global_store_dwordx2 v[16:17], v[10:11], off offset:2048
.LBB22_70:
	s_or_b64 exec, exec, s[2:3]
	v_or_b32_e32 v1, 0x400, v0
	v_cmp_gt_u32_e32 vcc, s26, v1
	s_and_saveexec_b64 s[2:3], vcc
	s_cbranch_execz .LBB22_72
; %bb.71:
	v_add_co_u32_e32 v16, vcc, 0x2000, v2
	s_nop 1
	v_addc_co_u32_e32 v17, vcc, 0, v3, vcc
	s_waitcnt lgkmcnt(0)
	global_store_dwordx2 v[16:17], v[12:13], off
.LBB22_72:
	s_or_b64 exec, exec, s[2:3]
	v_or_b32_e32 v1, 0x500, v0
	v_cmp_gt_u32_e32 vcc, s26, v1
	s_and_saveexec_b64 s[2:3], vcc
	s_cbranch_execz .LBB22_74
; %bb.73:
	v_add_co_u32_e32 v2, vcc, 0x2000, v2
	s_nop 1
	v_addc_co_u32_e32 v3, vcc, 0, v3, vcc
	s_waitcnt lgkmcnt(0)
	global_store_dwordx2 v[2:3], v[14:15], off offset:2048
.LBB22_74:
	s_or_b64 exec, exec, s[2:3]
	s_load_dword s0, s[0:1], 0x50
	s_waitcnt lgkmcnt(0)
	s_bfe_u32 s0, s0, 0x10008
	s_cmp_eq_u32 s0, 0
	s_cbranch_scc1 .LBB22_94
; %bb.75:
	s_add_u32 s0, s26, -1
	s_addc_u32 s1, s27, -1
	s_mul_i32 s5, s1, 0xaaaaaaab
	s_mul_hi_u32 s8, s0, 0xaaaaaaab
	s_mul_hi_u32 s4, s1, 0xaaaaaaab
	s_add_u32 s5, s5, s8
	s_mul_i32 s3, s0, 0xaaaaaaaa
	s_addc_u32 s4, s4, 0
	s_mul_hi_u32 s2, s0, 0xaaaaaaaa
	s_add_u32 s3, s3, s5
	s_addc_u32 s2, s2, 0
	s_add_u32 s2, s4, s2
	s_addc_u32 s3, 0, 0
	s_mul_i32 s5, s1, 0xaaaaaaaa
	s_mul_hi_u32 s4, s1, 0xaaaaaaaa
	s_add_u32 s2, s5, s2
	s_addc_u32 s3, s4, s3
	v_mov_b32_e32 v1, v27
	s_lshr_b64 s[2:3], s[2:3], 2
	v_cmp_eq_u64_e32 vcc, s[2:3], v[0:1]
	s_and_saveexec_b64 s[2:3], vcc
	s_cbranch_execz .LBB22_94
; %bb.76:
	v_mul_hi_u32_u24_e32 v1, 6, v0
	v_mul_u32_u24_e32 v0, 6, v0
	v_mov_b32_e32 v2, s1
	v_sub_co_u32_e32 v0, vcc, s0, v0
	s_nop 1
	v_subb_co_u32_e32 v1, vcc, v2, v1, vcc
	v_cmp_lt_i64_e32 vcc, 2, v[0:1]
	s_and_saveexec_b64 s[0:1], vcc
	s_xor_b64 s[0:1], exec, s[0:1]
	s_cbranch_execz .LBB22_86
; %bb.77:
	v_cmp_lt_i64_e32 vcc, 3, v[0:1]
	s_and_saveexec_b64 s[2:3], vcc
	s_xor_b64 s[2:3], exec, s[2:3]
	s_cbranch_execz .LBB22_83
; %bb.78:
	;; [unrolled: 5-line block ×3, first 2 shown]
	v_mov_b32_e32 v0, 0
	global_store_dwordx2 v0, v[14:15], s[6:7]
                                        ; implicit-def: $vgpr12_vgpr13_vgpr14_vgpr15
.LBB22_80:
	s_andn2_saveexec_b64 s[4:5], s[4:5]
	s_cbranch_execz .LBB22_82
; %bb.81:
	v_mov_b32_e32 v0, 0
	global_store_dwordx2 v0, v[12:13], s[6:7]
.LBB22_82:
	s_or_b64 exec, exec, s[4:5]
                                        ; implicit-def: $vgpr8_vgpr9_vgpr10_vgpr11
.LBB22_83:
	s_andn2_saveexec_b64 s[2:3], s[2:3]
	s_cbranch_execz .LBB22_85
; %bb.84:
	v_mov_b32_e32 v0, 0
	global_store_dwordx2 v0, v[10:11], s[6:7]
.LBB22_85:
	s_or_b64 exec, exec, s[2:3]
                                        ; implicit-def: $vgpr0_vgpr1
                                        ; implicit-def: $vgpr8_vgpr9_vgpr10_vgpr11
                                        ; implicit-def: $vgpr4_vgpr5_vgpr6_vgpr7
.LBB22_86:
	s_andn2_saveexec_b64 s[0:1], s[0:1]
	s_cbranch_execz .LBB22_94
; %bb.87:
	v_cmp_lt_i64_e32 vcc, 1, v[0:1]
	s_and_saveexec_b64 s[0:1], vcc
	s_xor_b64 s[0:1], exec, s[0:1]
	s_cbranch_execz .LBB22_89
; %bb.88:
	v_mov_b32_e32 v0, 0
	global_store_dwordx2 v0, v[8:9], s[6:7]
                                        ; implicit-def: $vgpr4_vgpr5_vgpr6_vgpr7
                                        ; implicit-def: $vgpr0_vgpr1
.LBB22_89:
	s_andn2_saveexec_b64 s[0:1], s[0:1]
	s_cbranch_execz .LBB22_94
; %bb.90:
	v_cmp_ne_u64_e32 vcc, 1, v[0:1]
	s_and_saveexec_b64 s[0:1], vcc
	s_xor_b64 s[0:1], exec, s[0:1]
	s_cbranch_execz .LBB22_92
; %bb.91:
	v_mov_b32_e32 v0, 0
	global_store_dwordx2 v0, v[4:5], s[6:7]
                                        ; implicit-def: $vgpr4_vgpr5_vgpr6_vgpr7
.LBB22_92:
	s_andn2_saveexec_b64 s[0:1], s[0:1]
	s_cbranch_execz .LBB22_94
; %bb.93:
	v_mov_b32_e32 v0, 0
	global_store_dwordx2 v0, v[6:7], s[6:7]
.LBB22_94:
	s_endpgm
	.section	.rodata,"a",@progbits
	.p2align	6, 0x0
	.amdhsa_kernel _ZN7rocprim17ROCPRIM_304000_NS6detail20lookback_scan_kernelILNS1_25lookback_scan_determinismE0ELb1ENS1_19wrapped_scan_configINS0_14default_configElEEN6hipcub22TransformInputIteratorIbN2at4cuda3cub12_GLOBAL__N_111CountMaskOpEPKhlEEPlNSC_5SumOpIlEEllNS1_19lookback_scan_stateIlLb0ELb1EEEEEvT2_T3_mT5_T4_T7_jPT6_SS_bb
		.amdhsa_group_segment_fixed_size 12288
		.amdhsa_private_segment_fixed_size 0
		.amdhsa_kernarg_size 84
		.amdhsa_user_sgpr_count 2
		.amdhsa_user_sgpr_dispatch_ptr 0
		.amdhsa_user_sgpr_queue_ptr 0
		.amdhsa_user_sgpr_kernarg_segment_ptr 1
		.amdhsa_user_sgpr_dispatch_id 0
		.amdhsa_user_sgpr_kernarg_preload_length 0
		.amdhsa_user_sgpr_kernarg_preload_offset 0
		.amdhsa_user_sgpr_private_segment_size 0
		.amdhsa_uses_dynamic_stack 0
		.amdhsa_enable_private_segment 0
		.amdhsa_system_sgpr_workgroup_id_x 1
		.amdhsa_system_sgpr_workgroup_id_y 0
		.amdhsa_system_sgpr_workgroup_id_z 0
		.amdhsa_system_sgpr_workgroup_info 0
		.amdhsa_system_vgpr_workitem_id 0
		.amdhsa_next_free_vgpr 54
		.amdhsa_next_free_sgpr 28
		.amdhsa_accum_offset 56
		.amdhsa_reserve_vcc 1
		.amdhsa_float_round_mode_32 0
		.amdhsa_float_round_mode_16_64 0
		.amdhsa_float_denorm_mode_32 3
		.amdhsa_float_denorm_mode_16_64 3
		.amdhsa_dx10_clamp 1
		.amdhsa_ieee_mode 1
		.amdhsa_fp16_overflow 0
		.amdhsa_tg_split 0
		.amdhsa_exception_fp_ieee_invalid_op 0
		.amdhsa_exception_fp_denorm_src 0
		.amdhsa_exception_fp_ieee_div_zero 0
		.amdhsa_exception_fp_ieee_overflow 0
		.amdhsa_exception_fp_ieee_underflow 0
		.amdhsa_exception_fp_ieee_inexact 0
		.amdhsa_exception_int_div_zero 0
	.end_amdhsa_kernel
	.section	.text._ZN7rocprim17ROCPRIM_304000_NS6detail20lookback_scan_kernelILNS1_25lookback_scan_determinismE0ELb1ENS1_19wrapped_scan_configINS0_14default_configElEEN6hipcub22TransformInputIteratorIbN2at4cuda3cub12_GLOBAL__N_111CountMaskOpEPKhlEEPlNSC_5SumOpIlEEllNS1_19lookback_scan_stateIlLb0ELb1EEEEEvT2_T3_mT5_T4_T7_jPT6_SS_bb,"axG",@progbits,_ZN7rocprim17ROCPRIM_304000_NS6detail20lookback_scan_kernelILNS1_25lookback_scan_determinismE0ELb1ENS1_19wrapped_scan_configINS0_14default_configElEEN6hipcub22TransformInputIteratorIbN2at4cuda3cub12_GLOBAL__N_111CountMaskOpEPKhlEEPlNSC_5SumOpIlEEllNS1_19lookback_scan_stateIlLb0ELb1EEEEEvT2_T3_mT5_T4_T7_jPT6_SS_bb,comdat
.Lfunc_end22:
	.size	_ZN7rocprim17ROCPRIM_304000_NS6detail20lookback_scan_kernelILNS1_25lookback_scan_determinismE0ELb1ENS1_19wrapped_scan_configINS0_14default_configElEEN6hipcub22TransformInputIteratorIbN2at4cuda3cub12_GLOBAL__N_111CountMaskOpEPKhlEEPlNSC_5SumOpIlEEllNS1_19lookback_scan_stateIlLb0ELb1EEEEEvT2_T3_mT5_T4_T7_jPT6_SS_bb, .Lfunc_end22-_ZN7rocprim17ROCPRIM_304000_NS6detail20lookback_scan_kernelILNS1_25lookback_scan_determinismE0ELb1ENS1_19wrapped_scan_configINS0_14default_configElEEN6hipcub22TransformInputIteratorIbN2at4cuda3cub12_GLOBAL__N_111CountMaskOpEPKhlEEPlNSC_5SumOpIlEEllNS1_19lookback_scan_stateIlLb0ELb1EEEEEvT2_T3_mT5_T4_T7_jPT6_SS_bb
                                        ; -- End function
	.set _ZN7rocprim17ROCPRIM_304000_NS6detail20lookback_scan_kernelILNS1_25lookback_scan_determinismE0ELb1ENS1_19wrapped_scan_configINS0_14default_configElEEN6hipcub22TransformInputIteratorIbN2at4cuda3cub12_GLOBAL__N_111CountMaskOpEPKhlEEPlNSC_5SumOpIlEEllNS1_19lookback_scan_stateIlLb0ELb1EEEEEvT2_T3_mT5_T4_T7_jPT6_SS_bb.num_vgpr, 54
	.set _ZN7rocprim17ROCPRIM_304000_NS6detail20lookback_scan_kernelILNS1_25lookback_scan_determinismE0ELb1ENS1_19wrapped_scan_configINS0_14default_configElEEN6hipcub22TransformInputIteratorIbN2at4cuda3cub12_GLOBAL__N_111CountMaskOpEPKhlEEPlNSC_5SumOpIlEEllNS1_19lookback_scan_stateIlLb0ELb1EEEEEvT2_T3_mT5_T4_T7_jPT6_SS_bb.num_agpr, 0
	.set _ZN7rocprim17ROCPRIM_304000_NS6detail20lookback_scan_kernelILNS1_25lookback_scan_determinismE0ELb1ENS1_19wrapped_scan_configINS0_14default_configElEEN6hipcub22TransformInputIteratorIbN2at4cuda3cub12_GLOBAL__N_111CountMaskOpEPKhlEEPlNSC_5SumOpIlEEllNS1_19lookback_scan_stateIlLb0ELb1EEEEEvT2_T3_mT5_T4_T7_jPT6_SS_bb.numbered_sgpr, 28
	.set _ZN7rocprim17ROCPRIM_304000_NS6detail20lookback_scan_kernelILNS1_25lookback_scan_determinismE0ELb1ENS1_19wrapped_scan_configINS0_14default_configElEEN6hipcub22TransformInputIteratorIbN2at4cuda3cub12_GLOBAL__N_111CountMaskOpEPKhlEEPlNSC_5SumOpIlEEllNS1_19lookback_scan_stateIlLb0ELb1EEEEEvT2_T3_mT5_T4_T7_jPT6_SS_bb.num_named_barrier, 0
	.set _ZN7rocprim17ROCPRIM_304000_NS6detail20lookback_scan_kernelILNS1_25lookback_scan_determinismE0ELb1ENS1_19wrapped_scan_configINS0_14default_configElEEN6hipcub22TransformInputIteratorIbN2at4cuda3cub12_GLOBAL__N_111CountMaskOpEPKhlEEPlNSC_5SumOpIlEEllNS1_19lookback_scan_stateIlLb0ELb1EEEEEvT2_T3_mT5_T4_T7_jPT6_SS_bb.private_seg_size, 0
	.set _ZN7rocprim17ROCPRIM_304000_NS6detail20lookback_scan_kernelILNS1_25lookback_scan_determinismE0ELb1ENS1_19wrapped_scan_configINS0_14default_configElEEN6hipcub22TransformInputIteratorIbN2at4cuda3cub12_GLOBAL__N_111CountMaskOpEPKhlEEPlNSC_5SumOpIlEEllNS1_19lookback_scan_stateIlLb0ELb1EEEEEvT2_T3_mT5_T4_T7_jPT6_SS_bb.uses_vcc, 1
	.set _ZN7rocprim17ROCPRIM_304000_NS6detail20lookback_scan_kernelILNS1_25lookback_scan_determinismE0ELb1ENS1_19wrapped_scan_configINS0_14default_configElEEN6hipcub22TransformInputIteratorIbN2at4cuda3cub12_GLOBAL__N_111CountMaskOpEPKhlEEPlNSC_5SumOpIlEEllNS1_19lookback_scan_stateIlLb0ELb1EEEEEvT2_T3_mT5_T4_T7_jPT6_SS_bb.uses_flat_scratch, 0
	.set _ZN7rocprim17ROCPRIM_304000_NS6detail20lookback_scan_kernelILNS1_25lookback_scan_determinismE0ELb1ENS1_19wrapped_scan_configINS0_14default_configElEEN6hipcub22TransformInputIteratorIbN2at4cuda3cub12_GLOBAL__N_111CountMaskOpEPKhlEEPlNSC_5SumOpIlEEllNS1_19lookback_scan_stateIlLb0ELb1EEEEEvT2_T3_mT5_T4_T7_jPT6_SS_bb.has_dyn_sized_stack, 0
	.set _ZN7rocprim17ROCPRIM_304000_NS6detail20lookback_scan_kernelILNS1_25lookback_scan_determinismE0ELb1ENS1_19wrapped_scan_configINS0_14default_configElEEN6hipcub22TransformInputIteratorIbN2at4cuda3cub12_GLOBAL__N_111CountMaskOpEPKhlEEPlNSC_5SumOpIlEEllNS1_19lookback_scan_stateIlLb0ELb1EEEEEvT2_T3_mT5_T4_T7_jPT6_SS_bb.has_recursion, 0
	.set _ZN7rocprim17ROCPRIM_304000_NS6detail20lookback_scan_kernelILNS1_25lookback_scan_determinismE0ELb1ENS1_19wrapped_scan_configINS0_14default_configElEEN6hipcub22TransformInputIteratorIbN2at4cuda3cub12_GLOBAL__N_111CountMaskOpEPKhlEEPlNSC_5SumOpIlEEllNS1_19lookback_scan_stateIlLb0ELb1EEEEEvT2_T3_mT5_T4_T7_jPT6_SS_bb.has_indirect_call, 0
	.section	.AMDGPU.csdata,"",@progbits
; Kernel info:
; codeLenInByte = 5028
; TotalNumSgprs: 34
; NumVgprs: 54
; NumAgprs: 0
; TotalNumVgprs: 54
; ScratchSize: 0
; MemoryBound: 0
; FloatMode: 240
; IeeeMode: 1
; LDSByteSize: 12288 bytes/workgroup (compile time only)
; SGPRBlocks: 4
; VGPRBlocks: 6
; NumSGPRsForWavesPerEU: 34
; NumVGPRsForWavesPerEU: 54
; AccumOffset: 56
; Occupancy: 8
; WaveLimiterHint : 1
; COMPUTE_PGM_RSRC2:SCRATCH_EN: 0
; COMPUTE_PGM_RSRC2:USER_SGPR: 2
; COMPUTE_PGM_RSRC2:TRAP_HANDLER: 0
; COMPUTE_PGM_RSRC2:TGID_X_EN: 1
; COMPUTE_PGM_RSRC2:TGID_Y_EN: 0
; COMPUTE_PGM_RSRC2:TGID_Z_EN: 0
; COMPUTE_PGM_RSRC2:TIDIG_COMP_CNT: 0
; COMPUTE_PGM_RSRC3_GFX90A:ACCUM_OFFSET: 13
; COMPUTE_PGM_RSRC3_GFX90A:TG_SPLIT: 0
	.section	.text._ZN7rocprim17ROCPRIM_304000_NS6detail18single_scan_kernelILb1ENS1_19wrapped_scan_configINS0_14default_configElEEN6hipcub22TransformInputIteratorIbN2at4cuda3cub12_GLOBAL__N_111CountMaskOpEPKhlEEPlNSB_5SumOpIlEEllEEvT1_mT4_T2_T3_,"axG",@progbits,_ZN7rocprim17ROCPRIM_304000_NS6detail18single_scan_kernelILb1ENS1_19wrapped_scan_configINS0_14default_configElEEN6hipcub22TransformInputIteratorIbN2at4cuda3cub12_GLOBAL__N_111CountMaskOpEPKhlEEPlNSB_5SumOpIlEEllEEvT1_mT4_T2_T3_,comdat
	.globl	_ZN7rocprim17ROCPRIM_304000_NS6detail18single_scan_kernelILb1ENS1_19wrapped_scan_configINS0_14default_configElEEN6hipcub22TransformInputIteratorIbN2at4cuda3cub12_GLOBAL__N_111CountMaskOpEPKhlEEPlNSB_5SumOpIlEEllEEvT1_mT4_T2_T3_ ; -- Begin function _ZN7rocprim17ROCPRIM_304000_NS6detail18single_scan_kernelILb1ENS1_19wrapped_scan_configINS0_14default_configElEEN6hipcub22TransformInputIteratorIbN2at4cuda3cub12_GLOBAL__N_111CountMaskOpEPKhlEEPlNSB_5SumOpIlEEllEEvT1_mT4_T2_T3_
	.p2align	8
	.type	_ZN7rocprim17ROCPRIM_304000_NS6detail18single_scan_kernelILb1ENS1_19wrapped_scan_configINS0_14default_configElEEN6hipcub22TransformInputIteratorIbN2at4cuda3cub12_GLOBAL__N_111CountMaskOpEPKhlEEPlNSB_5SumOpIlEEllEEvT1_mT4_T2_T3_,@function
_ZN7rocprim17ROCPRIM_304000_NS6detail18single_scan_kernelILb1ENS1_19wrapped_scan_configINS0_14default_configElEEN6hipcub22TransformInputIteratorIbN2at4cuda3cub12_GLOBAL__N_111CountMaskOpEPKhlEEPlNSB_5SumOpIlEEllEEvT1_mT4_T2_T3_: ; @_ZN7rocprim17ROCPRIM_304000_NS6detail18single_scan_kernelILb1ENS1_19wrapped_scan_configINS0_14default_configElEEN6hipcub22TransformInputIteratorIbN2at4cuda3cub12_GLOBAL__N_111CountMaskOpEPKhlEEPlNSB_5SumOpIlEEllEEvT1_mT4_T2_T3_
; %bb.0:
	s_load_dwordx2 s[2:3], s[0:1], 0x0
	s_load_dwordx4 s[16:19], s[0:1], 0x10
	v_mov_b32_e32 v1, 0
	s_mov_b32 s6, 0
	v_mov_b32_e32 v3, s6
	s_waitcnt lgkmcnt(0)
	global_load_ubyte v2, v1, s[2:3]
	v_lshl_add_u64 v[14:15], s[2:3], 0, v[0:1]
	v_mov_b32_e32 v5, s6
	v_mov_b32_e32 v9, s6
	v_mov_b32_e32 v7, s6
	v_mov_b32_e32 v11, s6
	v_cmp_gt_u32_e32 vcc, s16, v0
	s_waitcnt vmcnt(0)
	v_cmp_ne_u32_e64 s[2:3], 0, v2
	s_nop 1
	v_cndmask_b32_e64 v2, 0, 1, s[2:3]
	v_mov_b32_e32 v4, v2
	v_mov_b32_e32 v8, v2
	;; [unrolled: 1-line block ×4, first 2 shown]
	v_mov_b64_e32 v[12:13], v[2:3]
	s_and_saveexec_b64 s[4:5], vcc
	s_cbranch_execz .LBB23_2
; %bb.1:
	global_load_ubyte v1, v[14:15], off
	v_mov_b32_e32 v13, s6
	v_mov_b32_e32 v4, v2
	;; [unrolled: 1-line block ×9, first 2 shown]
	s_waitcnt vmcnt(0)
	v_cmp_ne_u16_e64 s[2:3], 0, v1
	s_nop 1
	v_cndmask_b32_e64 v12, 0, 1, s[2:3]
.LBB23_2:
	s_or_b64 exec, exec, s[4:5]
	v_or_b32_e32 v1, 0x100, v0
	v_cmp_gt_u32_e64 s[10:11], s16, v1
	s_and_saveexec_b64 s[4:5], s[10:11]
	s_cbranch_execz .LBB23_4
; %bb.3:
	global_load_ubyte v1, v[14:15], off offset:256
	v_mov_b32_e32 v3, s6
	s_waitcnt vmcnt(0)
	v_cmp_ne_u16_e64 s[2:3], 0, v1
	s_nop 1
	v_cndmask_b32_e64 v2, 0, 1, s[2:3]
.LBB23_4:
	s_or_b64 exec, exec, s[4:5]
	v_or_b32_e32 v1, 0x200, v0
	v_cmp_gt_u32_e64 s[2:3], s16, v1
	s_and_saveexec_b64 s[6:7], s[2:3]
	s_cbranch_execz .LBB23_6
; %bb.5:
	global_load_ubyte v1, v[14:15], off offset:512
	s_mov_b32 s8, 0
	v_mov_b32_e32 v5, s8
	s_waitcnt vmcnt(0)
	v_cmp_ne_u16_e64 s[4:5], 0, v1
	s_nop 1
	v_cndmask_b32_e64 v4, 0, 1, s[4:5]
.LBB23_6:
	s_or_b64 exec, exec, s[6:7]
	v_or_b32_e32 v1, 0x300, v0
	v_cmp_gt_u32_e64 s[4:5], s16, v1
	s_and_saveexec_b64 s[8:9], s[4:5]
	s_cbranch_execz .LBB23_8
; %bb.7:
	global_load_ubyte v1, v[14:15], off offset:768
	s_mov_b32 s12, 0
	v_mov_b32_e32 v9, s12
	s_waitcnt vmcnt(0)
	v_cmp_ne_u16_e64 s[6:7], 0, v1
	s_nop 1
	v_cndmask_b32_e64 v8, 0, 1, s[6:7]
.LBB23_8:
	;; [unrolled: 14-line block ×4, first 2 shown]
	s_or_b64 exec, exec, s[14:15]
	v_lshlrev_b32_e32 v14, 3, v0
	v_mad_u32_u24 v1, v0, 40, v14
	ds_write2st64_b64 v14, v[12:13], v[2:3] offset1:4
	ds_write2st64_b64 v14, v[4:5], v[8:9] offset0:8 offset1:12
	ds_write2st64_b64 v14, v[6:7], v[10:11] offset0:16 offset1:20
	s_waitcnt lgkmcnt(0)
	s_barrier
	ds_read_b128 v[10:13], v1
	ds_read_b128 v[2:5], v1 offset:16
	ds_read_b128 v[6:9], v1 offset:32
	v_mbcnt_lo_u32_b32 v1, -1, 0
	v_mov_b32_e32 v18, 0
	s_waitcnt lgkmcnt(2)
	v_lshl_add_u64 v[16:17], v[12:13], 0, v[10:11]
	s_waitcnt lgkmcnt(1)
	v_lshl_add_u64 v[16:17], v[16:17], 0, v[2:3]
	v_lshl_add_u64 v[16:17], v[16:17], 0, v[4:5]
	s_waitcnt lgkmcnt(0)
	v_lshl_add_u64 v[16:17], v[16:17], 0, v[6:7]
	v_lshl_add_u64 v[8:9], v[16:17], 0, v[8:9]
	v_mbcnt_hi_u32_b32 v1, -1, v1
	v_mov_b32_e32 v17, v18
	v_mov_b32_dpp v16, v8 row_shr:1 row_mask:0xf bank_mask:0xf
	v_and_b32_e32 v15, 15, v1
	v_mov_b32_dpp v19, v9 row_shr:1 row_mask:0xf bank_mask:0xf
	v_lshl_add_u64 v[16:17], v[8:9], 0, v[16:17]
	s_load_dwordx2 s[16:17], s[0:1], 0x20
	v_lshl_add_u64 v[18:19], v[18:19], 0, v[16:17]
	v_cmp_eq_u32_e64 s[0:1], 0, v15
	v_cmp_ne_u32_e64 s[14:15], 0, v1
	s_waitcnt lgkmcnt(0)
	v_cndmask_b32_e64 v20, v16, v8, s[0:1]
	v_cndmask_b32_e64 v17, v19, v9, s[0:1]
	;; [unrolled: 1-line block ×3, first 2 shown]
	v_mov_b32_dpp v18, v20 row_shr:2 row_mask:0xf bank_mask:0xf
	v_mov_b32_dpp v19, v17 row_shr:2 row_mask:0xf bank_mask:0xf
	v_lshl_add_u64 v[18:19], v[18:19], 0, v[16:17]
	v_cmp_lt_u32_e64 s[0:1], 1, v15
	s_barrier
	s_nop 0
	v_cndmask_b32_e64 v20, v20, v18, s[0:1]
	v_cndmask_b32_e64 v17, v17, v19, s[0:1]
	;; [unrolled: 1-line block ×3, first 2 shown]
	v_mov_b32_dpp v18, v20 row_shr:4 row_mask:0xf bank_mask:0xf
	v_mov_b32_dpp v19, v17 row_shr:4 row_mask:0xf bank_mask:0xf
	v_lshl_add_u64 v[18:19], v[18:19], 0, v[16:17]
	v_cmp_lt_u32_e64 s[0:1], 3, v15
	s_nop 1
	v_cndmask_b32_e64 v20, v20, v18, s[0:1]
	v_cndmask_b32_e64 v17, v17, v19, s[0:1]
	;; [unrolled: 1-line block ×3, first 2 shown]
	v_mov_b32_dpp v18, v20 row_shr:8 row_mask:0xf bank_mask:0xf
	v_mov_b32_dpp v19, v17 row_shr:8 row_mask:0xf bank_mask:0xf
	v_lshl_add_u64 v[18:19], v[18:19], 0, v[16:17]
	v_cmp_lt_u32_e64 s[0:1], 7, v15
	s_nop 1
	v_cndmask_b32_e64 v15, v20, v18, s[0:1]
	v_cndmask_b32_e64 v17, v17, v19, s[0:1]
	;; [unrolled: 1-line block ×3, first 2 shown]
	v_mov_b32_dpp v18, v15 row_bcast:15 row_mask:0xf bank_mask:0xf
	v_mov_b32_dpp v19, v17 row_bcast:15 row_mask:0xf bank_mask:0xf
	v_and_b32_e32 v20, 16, v1
	v_lshl_add_u64 v[18:19], v[18:19], 0, v[16:17]
	v_cmp_eq_u32_e64 s[12:13], 0, v20
	v_cmp_eq_u32_e64 s[0:1], 0, v1
	s_nop 0
	v_cndmask_b32_e64 v20, v19, v17, s[12:13]
	v_cndmask_b32_e64 v15, v18, v15, s[12:13]
	s_nop 0
	v_mov_b32_dpp v20, v20 row_bcast:31 row_mask:0xf bank_mask:0xf
	v_mov_b32_dpp v15, v15 row_bcast:31 row_mask:0xf bank_mask:0xf
	s_and_saveexec_b64 s[20:21], s[14:15]
; %bb.13:
	v_cndmask_b32_e64 v9, v19, v17, s[12:13]
	v_cndmask_b32_e64 v8, v18, v16, s[12:13]
	v_cmp_lt_u32_e64 s[12:13], 31, v1
	s_nop 1
	v_cndmask_b32_e64 v17, 0, v20, s[12:13]
	v_cndmask_b32_e64 v16, 0, v15, s[12:13]
	v_lshl_add_u64 v[8:9], v[16:17], 0, v[8:9]
; %bb.14:
	s_or_b64 exec, exec, s[20:21]
	v_or_b32_e32 v16, 63, v0
	v_lshrrev_b32_e32 v15, 6, v0
	v_cmp_eq_u32_e64 s[12:13], v0, v16
	s_and_saveexec_b64 s[14:15], s[12:13]
; %bb.15:
	v_lshlrev_b32_e32 v16, 3, v15
	ds_write_b64 v16, v[8:9]
; %bb.16:
	s_or_b64 exec, exec, s[14:15]
	v_cmp_gt_u32_e64 s[12:13], 4, v0
	s_waitcnt lgkmcnt(0)
	s_barrier
	s_and_saveexec_b64 s[14:15], s[12:13]
	s_cbranch_execz .LBB23_18
; %bb.17:
	ds_read_b64 v[16:17], v14
	v_mov_b32_e32 v18, 0
	v_mov_b32_e32 v21, v18
	v_and_b32_e32 v22, 3, v1
	v_cmp_eq_u32_e64 s[12:13], 0, v22
	s_waitcnt lgkmcnt(0)
	v_mov_b32_dpp v20, v16 row_shr:1 row_mask:0xf bank_mask:0xf
	v_mov_b32_dpp v19, v17 row_shr:1 row_mask:0xf bank_mask:0xf
	v_lshl_add_u64 v[20:21], v[16:17], 0, v[20:21]
	v_lshl_add_u64 v[18:19], v[18:19], 0, v[20:21]
	v_cndmask_b32_e64 v19, v19, v17, s[12:13]
	v_cndmask_b32_e64 v18, v18, v16, s[12:13]
	;; [unrolled: 1-line block ×3, first 2 shown]
	v_mov_b32_dpp v17, v19 row_shr:2 row_mask:0xf bank_mask:0xf
	v_cmp_lt_u32_e64 s[12:13], 1, v22
	v_mov_b32_dpp v16, v16 row_shr:2 row_mask:0xf bank_mask:0xf
	s_nop 0
	v_cndmask_b32_e64 v16, 0, v16, s[12:13]
	v_cndmask_b32_e64 v17, 0, v17, s[12:13]
	v_lshl_add_u64 v[16:17], v[16:17], 0, v[18:19]
	ds_write_b64 v14, v[16:17]
.LBB23_18:
	s_or_b64 exec, exec, s[14:15]
	v_mul_u32_u24_e32 v18, 40, v0
	v_cmp_lt_u32_e64 s[12:13], 63, v0
	v_mov_b64_e32 v[16:17], s[18:19]
	s_waitcnt lgkmcnt(0)
	s_barrier
	s_and_saveexec_b64 s[14:15], s[12:13]
	s_cbranch_execz .LBB23_20
; %bb.19:
	v_lshl_add_u32 v15, v15, 3, -8
	ds_read_b64 v[16:17], v15
	s_waitcnt lgkmcnt(0)
	v_lshl_add_u64 v[16:17], v[16:17], 0, s[18:19]
.LBB23_20:
	s_or_b64 exec, exec, s[14:15]
	v_add_u32_e32 v15, -1, v1
	v_and_b32_e32 v19, 64, v1
	v_cmp_lt_i32_e64 s[12:13], v15, v19
	v_lshl_add_u64 v[8:9], v[16:17], 0, v[8:9]
	s_nop 0
	v_cndmask_b32_e64 v1, v15, v1, s[12:13]
	v_lshlrev_b32_e32 v1, 2, v1
	ds_bpermute_b32 v8, v1, v8
	ds_bpermute_b32 v1, v1, v9
	v_mov_b32_e32 v9, s19
	s_barrier
	s_waitcnt lgkmcnt(0)
	v_cndmask_b32_e64 v8, v8, v16, s[0:1]
	v_cndmask_b32_e64 v1, v1, v17, s[0:1]
	v_cmp_eq_u32_e64 s[0:1], 0, v0
	v_mov_b32_e32 v0, s18
	v_mov_b32_e32 v15, 0
	v_cndmask_b32_e64 v9, v1, v9, s[0:1]
	v_cndmask_b32_e64 v8, v8, v0, s[0:1]
	v_lshl_add_u64 v[10:11], v[8:9], 0, v[10:11]
	v_lshl_add_u64 v[0:1], v[10:11], 0, v[12:13]
	;; [unrolled: 1-line block ×5, first 2 shown]
	v_add_u32_e32 v12, v14, v18
	ds_write_b128 v12, v[8:11]
	ds_write_b128 v12, v[0:3] offset:16
	ds_write_b128 v12, v[4:7] offset:32
	s_waitcnt lgkmcnt(0)
	s_barrier
	ds_read2st64_b64 v[4:7], v14 offset0:4 offset1:8
	ds_read2st64_b64 v[0:3], v14 offset0:12 offset1:16
	ds_read_b64 v[8:9], v14 offset:10240
	v_lshl_add_u64 v[10:11], s[16:17], 0, v[14:15]
	s_and_saveexec_b64 s[0:1], vcc
	s_cbranch_execnz .LBB23_27
; %bb.21:
	s_or_b64 exec, exec, s[0:1]
	s_and_saveexec_b64 s[0:1], s[10:11]
	s_cbranch_execnz .LBB23_28
.LBB23_22:
	s_or_b64 exec, exec, s[0:1]
	s_and_saveexec_b64 s[0:1], s[2:3]
	s_cbranch_execnz .LBB23_29
.LBB23_23:
	s_or_b64 exec, exec, s[0:1]
	s_and_saveexec_b64 s[0:1], s[4:5]
	s_cbranch_execnz .LBB23_30
.LBB23_24:
	s_or_b64 exec, exec, s[0:1]
	s_and_saveexec_b64 s[0:1], s[6:7]
	s_cbranch_execnz .LBB23_31
.LBB23_25:
	s_or_b64 exec, exec, s[0:1]
	s_and_saveexec_b64 s[0:1], s[8:9]
	s_cbranch_execnz .LBB23_32
.LBB23_26:
	s_endpgm
.LBB23_27:
	ds_read_b64 v[12:13], v14
	s_waitcnt lgkmcnt(0)
	global_store_dwordx2 v[10:11], v[12:13], off
	s_or_b64 exec, exec, s[0:1]
	s_and_saveexec_b64 s[0:1], s[10:11]
	s_cbranch_execz .LBB23_22
.LBB23_28:
	s_waitcnt lgkmcnt(2)
	global_store_dwordx2 v[10:11], v[4:5], off offset:2048
	s_or_b64 exec, exec, s[0:1]
	s_and_saveexec_b64 s[0:1], s[2:3]
	s_cbranch_execz .LBB23_23
.LBB23_29:
	s_waitcnt lgkmcnt(2)
	v_add_co_u32_e32 v4, vcc, 0x1000, v10
	s_nop 1
	v_addc_co_u32_e32 v5, vcc, 0, v11, vcc
	global_store_dwordx2 v[4:5], v[6:7], off
	s_or_b64 exec, exec, s[0:1]
	s_and_saveexec_b64 s[0:1], s[4:5]
	s_cbranch_execz .LBB23_24
.LBB23_30:
	s_waitcnt lgkmcnt(2)
	v_add_co_u32_e32 v4, vcc, 0x1000, v10
	s_nop 1
	v_addc_co_u32_e32 v5, vcc, 0, v11, vcc
	s_waitcnt lgkmcnt(1)
	global_store_dwordx2 v[4:5], v[0:1], off offset:2048
	s_or_b64 exec, exec, s[0:1]
	s_and_saveexec_b64 s[0:1], s[6:7]
	s_cbranch_execz .LBB23_25
.LBB23_31:
	s_waitcnt lgkmcnt(1)
	v_add_co_u32_e32 v0, vcc, 0x2000, v10
	s_nop 1
	v_addc_co_u32_e32 v1, vcc, 0, v11, vcc
	global_store_dwordx2 v[0:1], v[2:3], off
	s_or_b64 exec, exec, s[0:1]
	s_and_saveexec_b64 s[0:1], s[8:9]
	s_cbranch_execz .LBB23_26
.LBB23_32:
	s_waitcnt lgkmcnt(1)
	v_add_co_u32_e32 v0, vcc, 0x2000, v10
	s_nop 1
	v_addc_co_u32_e32 v1, vcc, 0, v11, vcc
	s_waitcnt lgkmcnt(0)
	global_store_dwordx2 v[0:1], v[8:9], off offset:2048
	s_endpgm
	.section	.rodata,"a",@progbits
	.p2align	6, 0x0
	.amdhsa_kernel _ZN7rocprim17ROCPRIM_304000_NS6detail18single_scan_kernelILb1ENS1_19wrapped_scan_configINS0_14default_configElEEN6hipcub22TransformInputIteratorIbN2at4cuda3cub12_GLOBAL__N_111CountMaskOpEPKhlEEPlNSB_5SumOpIlEEllEEvT1_mT4_T2_T3_
		.amdhsa_group_segment_fixed_size 12288
		.amdhsa_private_segment_fixed_size 0
		.amdhsa_kernarg_size 44
		.amdhsa_user_sgpr_count 2
		.amdhsa_user_sgpr_dispatch_ptr 0
		.amdhsa_user_sgpr_queue_ptr 0
		.amdhsa_user_sgpr_kernarg_segment_ptr 1
		.amdhsa_user_sgpr_dispatch_id 0
		.amdhsa_user_sgpr_kernarg_preload_length 0
		.amdhsa_user_sgpr_kernarg_preload_offset 0
		.amdhsa_user_sgpr_private_segment_size 0
		.amdhsa_uses_dynamic_stack 0
		.amdhsa_enable_private_segment 0
		.amdhsa_system_sgpr_workgroup_id_x 1
		.amdhsa_system_sgpr_workgroup_id_y 0
		.amdhsa_system_sgpr_workgroup_id_z 0
		.amdhsa_system_sgpr_workgroup_info 0
		.amdhsa_system_vgpr_workitem_id 0
		.amdhsa_next_free_vgpr 23
		.amdhsa_next_free_sgpr 22
		.amdhsa_accum_offset 24
		.amdhsa_reserve_vcc 1
		.amdhsa_float_round_mode_32 0
		.amdhsa_float_round_mode_16_64 0
		.amdhsa_float_denorm_mode_32 3
		.amdhsa_float_denorm_mode_16_64 3
		.amdhsa_dx10_clamp 1
		.amdhsa_ieee_mode 1
		.amdhsa_fp16_overflow 0
		.amdhsa_tg_split 0
		.amdhsa_exception_fp_ieee_invalid_op 0
		.amdhsa_exception_fp_denorm_src 0
		.amdhsa_exception_fp_ieee_div_zero 0
		.amdhsa_exception_fp_ieee_overflow 0
		.amdhsa_exception_fp_ieee_underflow 0
		.amdhsa_exception_fp_ieee_inexact 0
		.amdhsa_exception_int_div_zero 0
	.end_amdhsa_kernel
	.section	.text._ZN7rocprim17ROCPRIM_304000_NS6detail18single_scan_kernelILb1ENS1_19wrapped_scan_configINS0_14default_configElEEN6hipcub22TransformInputIteratorIbN2at4cuda3cub12_GLOBAL__N_111CountMaskOpEPKhlEEPlNSB_5SumOpIlEEllEEvT1_mT4_T2_T3_,"axG",@progbits,_ZN7rocprim17ROCPRIM_304000_NS6detail18single_scan_kernelILb1ENS1_19wrapped_scan_configINS0_14default_configElEEN6hipcub22TransformInputIteratorIbN2at4cuda3cub12_GLOBAL__N_111CountMaskOpEPKhlEEPlNSB_5SumOpIlEEllEEvT1_mT4_T2_T3_,comdat
.Lfunc_end23:
	.size	_ZN7rocprim17ROCPRIM_304000_NS6detail18single_scan_kernelILb1ENS1_19wrapped_scan_configINS0_14default_configElEEN6hipcub22TransformInputIteratorIbN2at4cuda3cub12_GLOBAL__N_111CountMaskOpEPKhlEEPlNSB_5SumOpIlEEllEEvT1_mT4_T2_T3_, .Lfunc_end23-_ZN7rocprim17ROCPRIM_304000_NS6detail18single_scan_kernelILb1ENS1_19wrapped_scan_configINS0_14default_configElEEN6hipcub22TransformInputIteratorIbN2at4cuda3cub12_GLOBAL__N_111CountMaskOpEPKhlEEPlNSB_5SumOpIlEEllEEvT1_mT4_T2_T3_
                                        ; -- End function
	.set _ZN7rocprim17ROCPRIM_304000_NS6detail18single_scan_kernelILb1ENS1_19wrapped_scan_configINS0_14default_configElEEN6hipcub22TransformInputIteratorIbN2at4cuda3cub12_GLOBAL__N_111CountMaskOpEPKhlEEPlNSB_5SumOpIlEEllEEvT1_mT4_T2_T3_.num_vgpr, 23
	.set _ZN7rocprim17ROCPRIM_304000_NS6detail18single_scan_kernelILb1ENS1_19wrapped_scan_configINS0_14default_configElEEN6hipcub22TransformInputIteratorIbN2at4cuda3cub12_GLOBAL__N_111CountMaskOpEPKhlEEPlNSB_5SumOpIlEEllEEvT1_mT4_T2_T3_.num_agpr, 0
	.set _ZN7rocprim17ROCPRIM_304000_NS6detail18single_scan_kernelILb1ENS1_19wrapped_scan_configINS0_14default_configElEEN6hipcub22TransformInputIteratorIbN2at4cuda3cub12_GLOBAL__N_111CountMaskOpEPKhlEEPlNSB_5SumOpIlEEllEEvT1_mT4_T2_T3_.numbered_sgpr, 22
	.set _ZN7rocprim17ROCPRIM_304000_NS6detail18single_scan_kernelILb1ENS1_19wrapped_scan_configINS0_14default_configElEEN6hipcub22TransformInputIteratorIbN2at4cuda3cub12_GLOBAL__N_111CountMaskOpEPKhlEEPlNSB_5SumOpIlEEllEEvT1_mT4_T2_T3_.num_named_barrier, 0
	.set _ZN7rocprim17ROCPRIM_304000_NS6detail18single_scan_kernelILb1ENS1_19wrapped_scan_configINS0_14default_configElEEN6hipcub22TransformInputIteratorIbN2at4cuda3cub12_GLOBAL__N_111CountMaskOpEPKhlEEPlNSB_5SumOpIlEEllEEvT1_mT4_T2_T3_.private_seg_size, 0
	.set _ZN7rocprim17ROCPRIM_304000_NS6detail18single_scan_kernelILb1ENS1_19wrapped_scan_configINS0_14default_configElEEN6hipcub22TransformInputIteratorIbN2at4cuda3cub12_GLOBAL__N_111CountMaskOpEPKhlEEPlNSB_5SumOpIlEEllEEvT1_mT4_T2_T3_.uses_vcc, 1
	.set _ZN7rocprim17ROCPRIM_304000_NS6detail18single_scan_kernelILb1ENS1_19wrapped_scan_configINS0_14default_configElEEN6hipcub22TransformInputIteratorIbN2at4cuda3cub12_GLOBAL__N_111CountMaskOpEPKhlEEPlNSB_5SumOpIlEEllEEvT1_mT4_T2_T3_.uses_flat_scratch, 0
	.set _ZN7rocprim17ROCPRIM_304000_NS6detail18single_scan_kernelILb1ENS1_19wrapped_scan_configINS0_14default_configElEEN6hipcub22TransformInputIteratorIbN2at4cuda3cub12_GLOBAL__N_111CountMaskOpEPKhlEEPlNSB_5SumOpIlEEllEEvT1_mT4_T2_T3_.has_dyn_sized_stack, 0
	.set _ZN7rocprim17ROCPRIM_304000_NS6detail18single_scan_kernelILb1ENS1_19wrapped_scan_configINS0_14default_configElEEN6hipcub22TransformInputIteratorIbN2at4cuda3cub12_GLOBAL__N_111CountMaskOpEPKhlEEPlNSB_5SumOpIlEEllEEvT1_mT4_T2_T3_.has_recursion, 0
	.set _ZN7rocprim17ROCPRIM_304000_NS6detail18single_scan_kernelILb1ENS1_19wrapped_scan_configINS0_14default_configElEEN6hipcub22TransformInputIteratorIbN2at4cuda3cub12_GLOBAL__N_111CountMaskOpEPKhlEEPlNSB_5SumOpIlEEllEEvT1_mT4_T2_T3_.has_indirect_call, 0
	.section	.AMDGPU.csdata,"",@progbits
; Kernel info:
; codeLenInByte = 1876
; TotalNumSgprs: 28
; NumVgprs: 23
; NumAgprs: 0
; TotalNumVgprs: 23
; ScratchSize: 0
; MemoryBound: 0
; FloatMode: 240
; IeeeMode: 1
; LDSByteSize: 12288 bytes/workgroup (compile time only)
; SGPRBlocks: 3
; VGPRBlocks: 2
; NumSGPRsForWavesPerEU: 28
; NumVGPRsForWavesPerEU: 23
; AccumOffset: 24
; Occupancy: 8
; WaveLimiterHint : 0
; COMPUTE_PGM_RSRC2:SCRATCH_EN: 0
; COMPUTE_PGM_RSRC2:USER_SGPR: 2
; COMPUTE_PGM_RSRC2:TRAP_HANDLER: 0
; COMPUTE_PGM_RSRC2:TGID_X_EN: 1
; COMPUTE_PGM_RSRC2:TGID_Y_EN: 0
; COMPUTE_PGM_RSRC2:TGID_Z_EN: 0
; COMPUTE_PGM_RSRC2:TIDIG_COMP_CNT: 0
; COMPUTE_PGM_RSRC3_GFX90A:ACCUM_OFFSET: 5
; COMPUTE_PGM_RSRC3_GFX90A:TG_SPLIT: 0
	.section	.AMDGPU.gpr_maximums,"",@progbits
	.set amdgpu.max_num_vgpr, 0
	.set amdgpu.max_num_agpr, 0
	.set amdgpu.max_num_sgpr, 0
	.section	.AMDGPU.csdata,"",@progbits
	.type	__hip_cuid_5c710d925c4ad98d,@object ; @__hip_cuid_5c710d925c4ad98d
	.section	.bss,"aw",@nobits
	.globl	__hip_cuid_5c710d925c4ad98d
__hip_cuid_5c710d925c4ad98d:
	.byte	0                               ; 0x0
	.size	__hip_cuid_5c710d925c4ad98d, 1

	.ident	"AMD clang version 22.0.0git (https://github.com/RadeonOpenCompute/llvm-project roc-7.2.4 26084 f58b06dce1f9c15707c5f808fd002e18c2accf7e)"
	.section	".note.GNU-stack","",@progbits
	.addrsig
	.addrsig_sym __hip_cuid_5c710d925c4ad98d
	.amdgpu_metadata
---
amdhsa.kernels:
  - .agpr_count:     0
    .args:
      - .address_space:  global
        .offset:         0
        .size:           8
        .value_kind:     global_buffer
      - .offset:         8
        .size:           4
        .value_kind:     by_value
      - .offset:         12
        .size:           4
        .value_kind:     by_value
      - .address_space:  global
        .offset:         16
        .size:           8
        .value_kind:     global_buffer
      - .offset:         24
        .size:           4
        .value_kind:     hidden_block_count_x
      - .offset:         28
        .size:           4
        .value_kind:     hidden_block_count_y
      - .offset:         32
        .size:           4
        .value_kind:     hidden_block_count_z
      - .offset:         36
        .size:           2
        .value_kind:     hidden_group_size_x
      - .offset:         38
        .size:           2
        .value_kind:     hidden_group_size_y
      - .offset:         40
        .size:           2
        .value_kind:     hidden_group_size_z
      - .offset:         42
        .size:           2
        .value_kind:     hidden_remainder_x
      - .offset:         44
        .size:           2
        .value_kind:     hidden_remainder_y
      - .offset:         46
        .size:           2
        .value_kind:     hidden_remainder_z
      - .offset:         64
        .size:           8
        .value_kind:     hidden_global_offset_x
      - .offset:         72
        .size:           8
        .value_kind:     hidden_global_offset_y
      - .offset:         80
        .size:           8
        .value_kind:     hidden_global_offset_z
      - .offset:         88
        .size:           2
        .value_kind:     hidden_grid_dims
    .group_segment_fixed_size: 0
    .kernarg_segment_align: 8
    .kernarg_segment_size: 280
    .language:       OpenCL C
    .language_version:
      - 2
      - 0
    .max_flat_workgroup_size: 256
    .name:           _ZN7rocprim17ROCPRIM_304000_NS6detail31init_lookback_scan_state_kernelINS1_19lookback_scan_stateIiLb1ELb1EEEEEvT_jjPNS5_10value_typeE
    .private_segment_fixed_size: 0
    .sgpr_count:     18
    .sgpr_spill_count: 0
    .symbol:         _ZN7rocprim17ROCPRIM_304000_NS6detail31init_lookback_scan_state_kernelINS1_19lookback_scan_stateIiLb1ELb1EEEEEvT_jjPNS5_10value_typeE.kd
    .uniform_work_group_size: 1
    .uses_dynamic_stack: false
    .vgpr_count:     6
    .vgpr_spill_count: 0
    .wavefront_size: 64
  - .agpr_count:     0
    .args:
      - .address_space:  global
        .offset:         0
        .size:           8
        .value_kind:     global_buffer
      - .offset:         8
        .size:           4
        .value_kind:     by_value
      - .offset:         12
        .size:           4
        .value_kind:     by_value
      - .address_space:  global
        .offset:         16
        .size:           8
        .value_kind:     global_buffer
      - .offset:         24
        .size:           4
        .value_kind:     hidden_block_count_x
      - .offset:         28
        .size:           4
        .value_kind:     hidden_block_count_y
      - .offset:         32
        .size:           4
        .value_kind:     hidden_block_count_z
      - .offset:         36
        .size:           2
        .value_kind:     hidden_group_size_x
      - .offset:         38
        .size:           2
        .value_kind:     hidden_group_size_y
      - .offset:         40
        .size:           2
        .value_kind:     hidden_group_size_z
      - .offset:         42
        .size:           2
        .value_kind:     hidden_remainder_x
      - .offset:         44
        .size:           2
        .value_kind:     hidden_remainder_y
      - .offset:         46
        .size:           2
        .value_kind:     hidden_remainder_z
      - .offset:         64
        .size:           8
        .value_kind:     hidden_global_offset_x
      - .offset:         72
        .size:           8
        .value_kind:     hidden_global_offset_y
      - .offset:         80
        .size:           8
        .value_kind:     hidden_global_offset_z
      - .offset:         88
        .size:           2
        .value_kind:     hidden_grid_dims
    .group_segment_fixed_size: 0
    .kernarg_segment_align: 8
    .kernarg_segment_size: 280
    .language:       OpenCL C
    .language_version:
      - 2
      - 0
    .max_flat_workgroup_size: 256
    .name:           _ZN7rocprim17ROCPRIM_304000_NS6detail31init_lookback_scan_state_kernelINS1_19lookback_scan_stateIiLb0ELb1EEEEEvT_jjPNS5_10value_typeE
    .private_segment_fixed_size: 0
    .sgpr_count:     16
    .sgpr_spill_count: 0
    .symbol:         _ZN7rocprim17ROCPRIM_304000_NS6detail31init_lookback_scan_state_kernelINS1_19lookback_scan_stateIiLb0ELb1EEEEEvT_jjPNS5_10value_typeE.kd
    .uniform_work_group_size: 1
    .uses_dynamic_stack: false
    .vgpr_count:     6
    .vgpr_spill_count: 0
    .wavefront_size: 64
  - .agpr_count:     0
    .args:
      - .address_space:  global
        .offset:         0
        .size:           8
        .value_kind:     global_buffer
      - .address_space:  global
        .offset:         8
        .size:           8
        .value_kind:     global_buffer
      - .offset:         16
        .size:           8
        .value_kind:     by_value
      - .offset:         24
        .size:           4
        .value_kind:     by_value
      - .offset:         28
        .size:           1
        .value_kind:     by_value
      - .address_space:  global
        .offset:         32
        .size:           8
        .value_kind:     global_buffer
      - .offset:         40
        .size:           4
        .value_kind:     by_value
      - .address_space:  global
        .offset:         48
        .size:           8
        .value_kind:     global_buffer
      - .address_space:  global
        .offset:         56
        .size:           8
        .value_kind:     global_buffer
      - .offset:         64
        .size:           1
        .value_kind:     by_value
      - .offset:         65
        .size:           1
        .value_kind:     by_value
    .group_segment_fixed_size: 0
    .kernarg_segment_align: 8
    .kernarg_segment_size: 68
    .language:       OpenCL C
    .language_version:
      - 2
      - 0
    .max_flat_workgroup_size: 256
    .name:           _ZN7rocprim17ROCPRIM_304000_NS6detail20lookback_scan_kernelILNS1_25lookback_scan_determinismE0ELb0ENS1_19wrapped_scan_configINS0_14default_configEiEEPKiPiSt4plusIvEiiNS1_19lookback_scan_stateIiLb1ELb1EEEEEvT2_T3_mT5_T4_T7_jPT6_SK_bb
    .private_segment_fixed_size: 0
    .sgpr_count:     6
    .sgpr_spill_count: 0
    .symbol:         _ZN7rocprim17ROCPRIM_304000_NS6detail20lookback_scan_kernelILNS1_25lookback_scan_determinismE0ELb0ENS1_19wrapped_scan_configINS0_14default_configEiEEPKiPiSt4plusIvEiiNS1_19lookback_scan_stateIiLb1ELb1EEEEEvT2_T3_mT5_T4_T7_jPT6_SK_bb.kd
    .uniform_work_group_size: 1
    .uses_dynamic_stack: false
    .vgpr_count:     0
    .vgpr_spill_count: 0
    .wavefront_size: 64
  - .agpr_count:     0
    .args:
      - .address_space:  global
        .offset:         0
        .size:           8
        .value_kind:     global_buffer
      - .address_space:  global
        .offset:         8
        .size:           8
        .value_kind:     global_buffer
      - .offset:         16
        .size:           8
        .value_kind:     by_value
      - .offset:         24
        .size:           4
        .value_kind:     by_value
      - .offset:         28
        .size:           1
        .value_kind:     by_value
      - .address_space:  global
        .offset:         32
        .size:           8
        .value_kind:     global_buffer
      - .offset:         40
        .size:           4
        .value_kind:     by_value
      - .address_space:  global
        .offset:         48
        .size:           8
        .value_kind:     global_buffer
      - .address_space:  global
        .offset:         56
        .size:           8
        .value_kind:     global_buffer
      - .offset:         64
        .size:           1
        .value_kind:     by_value
      - .offset:         65
        .size:           1
        .value_kind:     by_value
    .group_segment_fixed_size: 14336
    .kernarg_segment_align: 8
    .kernarg_segment_size: 68
    .language:       OpenCL C
    .language_version:
      - 2
      - 0
    .max_flat_workgroup_size: 256
    .name:           _ZN7rocprim17ROCPRIM_304000_NS6detail20lookback_scan_kernelILNS1_25lookback_scan_determinismE0ELb0ENS1_19wrapped_scan_configINS0_14default_configEiEEPKiPiSt4plusIvEiiNS1_19lookback_scan_stateIiLb0ELb1EEEEEvT2_T3_mT5_T4_T7_jPT6_SK_bb
    .private_segment_fixed_size: 0
    .sgpr_count:     36
    .sgpr_spill_count: 0
    .symbol:         _ZN7rocprim17ROCPRIM_304000_NS6detail20lookback_scan_kernelILNS1_25lookback_scan_determinismE0ELb0ENS1_19wrapped_scan_configINS0_14default_configEiEEPKiPiSt4plusIvEiiNS1_19lookback_scan_stateIiLb0ELb1EEEEEvT2_T3_mT5_T4_T7_jPT6_SK_bb.kd
    .uniform_work_group_size: 1
    .uses_dynamic_stack: false
    .vgpr_count:     46
    .vgpr_spill_count: 0
    .wavefront_size: 64
  - .agpr_count:     0
    .args:
      - .address_space:  global
        .offset:         0
        .size:           8
        .value_kind:     global_buffer
      - .offset:         8
        .size:           8
        .value_kind:     by_value
      - .address_space:  global
        .offset:         16
        .size:           8
        .value_kind:     global_buffer
      - .offset:         24
        .size:           1
        .value_kind:     by_value
      - .offset:         32
        .size:           4
        .value_kind:     hidden_block_count_x
      - .offset:         36
        .size:           4
        .value_kind:     hidden_block_count_y
      - .offset:         40
        .size:           4
        .value_kind:     hidden_block_count_z
      - .offset:         44
        .size:           2
        .value_kind:     hidden_group_size_x
      - .offset:         46
        .size:           2
        .value_kind:     hidden_group_size_y
      - .offset:         48
        .size:           2
        .value_kind:     hidden_group_size_z
      - .offset:         50
        .size:           2
        .value_kind:     hidden_remainder_x
      - .offset:         52
        .size:           2
        .value_kind:     hidden_remainder_y
      - .offset:         54
        .size:           2
        .value_kind:     hidden_remainder_z
      - .offset:         72
        .size:           8
        .value_kind:     hidden_global_offset_x
      - .offset:         80
        .size:           8
        .value_kind:     hidden_global_offset_y
      - .offset:         88
        .size:           8
        .value_kind:     hidden_global_offset_z
      - .offset:         96
        .size:           2
        .value_kind:     hidden_grid_dims
    .group_segment_fixed_size: 0
    .kernarg_segment_align: 8
    .kernarg_segment_size: 288
    .language:       OpenCL C
    .language_version:
      - 2
      - 0
    .max_flat_workgroup_size: 128
    .name:           _ZN7rocprim17ROCPRIM_304000_NS6detail16transform_kernelINS1_24wrapped_transform_configINS0_14default_configEiEEiPiS6_NS0_8identityIiEEEEvT1_mT2_T3_
    .private_segment_fixed_size: 0
    .sgpr_count:     18
    .sgpr_spill_count: 0
    .symbol:         _ZN7rocprim17ROCPRIM_304000_NS6detail16transform_kernelINS1_24wrapped_transform_configINS0_14default_configEiEEiPiS6_NS0_8identityIiEEEEvT1_mT2_T3_.kd
    .uniform_work_group_size: 1
    .uses_dynamic_stack: false
    .vgpr_count:     10
    .vgpr_spill_count: 0
    .wavefront_size: 64
  - .agpr_count:     0
    .args:
      - .address_space:  global
        .offset:         0
        .size:           8
        .value_kind:     global_buffer
      - .offset:         8
        .size:           8
        .value_kind:     by_value
      - .offset:         16
        .size:           4
        .value_kind:     by_value
      - .address_space:  global
        .offset:         24
        .size:           8
        .value_kind:     global_buffer
      - .offset:         32
        .size:           1
        .value_kind:     by_value
    .group_segment_fixed_size: 14336
    .kernarg_segment_align: 8
    .kernarg_segment_size: 36
    .language:       OpenCL C
    .language_version:
      - 2
      - 0
    .max_flat_workgroup_size: 256
    .name:           _ZN7rocprim17ROCPRIM_304000_NS6detail18single_scan_kernelILb0ENS1_19wrapped_scan_configINS0_14default_configEiEEPKiPiSt4plusIvEiiEEvT1_mT4_T2_T3_
    .private_segment_fixed_size: 0
    .sgpr_count:     38
    .sgpr_spill_count: 0
    .symbol:         _ZN7rocprim17ROCPRIM_304000_NS6detail18single_scan_kernelILb0ENS1_19wrapped_scan_configINS0_14default_configEiEEPKiPiSt4plusIvEiiEEvT1_mT4_T2_T3_.kd
    .uniform_work_group_size: 1
    .uses_dynamic_stack: false
    .vgpr_count:     22
    .vgpr_spill_count: 0
    .wavefront_size: 64
  - .agpr_count:     0
    .args:
      - .address_space:  global
        .offset:         0
        .size:           8
        .value_kind:     global_buffer
      - .offset:         8
        .size:           4
        .value_kind:     by_value
      - .offset:         12
        .size:           4
        .value_kind:     by_value
      - .address_space:  global
        .offset:         16
        .size:           8
        .value_kind:     global_buffer
      - .offset:         24
        .size:           4
        .value_kind:     hidden_block_count_x
      - .offset:         28
        .size:           4
        .value_kind:     hidden_block_count_y
      - .offset:         32
        .size:           4
        .value_kind:     hidden_block_count_z
      - .offset:         36
        .size:           2
        .value_kind:     hidden_group_size_x
      - .offset:         38
        .size:           2
        .value_kind:     hidden_group_size_y
      - .offset:         40
        .size:           2
        .value_kind:     hidden_group_size_z
      - .offset:         42
        .size:           2
        .value_kind:     hidden_remainder_x
      - .offset:         44
        .size:           2
        .value_kind:     hidden_remainder_y
      - .offset:         46
        .size:           2
        .value_kind:     hidden_remainder_z
      - .offset:         64
        .size:           8
        .value_kind:     hidden_global_offset_x
      - .offset:         72
        .size:           8
        .value_kind:     hidden_global_offset_y
      - .offset:         80
        .size:           8
        .value_kind:     hidden_global_offset_z
      - .offset:         88
        .size:           2
        .value_kind:     hidden_grid_dims
    .group_segment_fixed_size: 0
    .kernarg_segment_align: 8
    .kernarg_segment_size: 280
    .language:       OpenCL C
    .language_version:
      - 2
      - 0
    .max_flat_workgroup_size: 256
    .name:           _ZN7rocprim17ROCPRIM_304000_NS6detail31init_lookback_scan_state_kernelINS1_19lookback_scan_stateIlLb1ELb1EEEEEvT_jjPNS5_10value_typeE
    .private_segment_fixed_size: 0
    .sgpr_count:     20
    .sgpr_spill_count: 0
    .symbol:         _ZN7rocprim17ROCPRIM_304000_NS6detail31init_lookback_scan_state_kernelINS1_19lookback_scan_stateIlLb1ELb1EEEEEvT_jjPNS5_10value_typeE.kd
    .uniform_work_group_size: 1
    .uses_dynamic_stack: false
    .vgpr_count:     10
    .vgpr_spill_count: 0
    .wavefront_size: 64
  - .agpr_count:     0
    .args:
      - .address_space:  global
        .offset:         0
        .size:           8
        .value_kind:     global_buffer
      - .offset:         8
        .size:           4
        .value_kind:     by_value
      - .offset:         12
        .size:           4
        .value_kind:     by_value
      - .address_space:  global
        .offset:         16
        .size:           8
        .value_kind:     global_buffer
      - .offset:         24
        .size:           4
        .value_kind:     hidden_block_count_x
      - .offset:         28
        .size:           4
        .value_kind:     hidden_block_count_y
      - .offset:         32
        .size:           4
        .value_kind:     hidden_block_count_z
      - .offset:         36
        .size:           2
        .value_kind:     hidden_group_size_x
      - .offset:         38
        .size:           2
        .value_kind:     hidden_group_size_y
      - .offset:         40
        .size:           2
        .value_kind:     hidden_group_size_z
      - .offset:         42
        .size:           2
        .value_kind:     hidden_remainder_x
      - .offset:         44
        .size:           2
        .value_kind:     hidden_remainder_y
      - .offset:         46
        .size:           2
        .value_kind:     hidden_remainder_z
      - .offset:         64
        .size:           8
        .value_kind:     hidden_global_offset_x
      - .offset:         72
        .size:           8
        .value_kind:     hidden_global_offset_y
      - .offset:         80
        .size:           8
        .value_kind:     hidden_global_offset_z
      - .offset:         88
        .size:           2
        .value_kind:     hidden_grid_dims
    .group_segment_fixed_size: 0
    .kernarg_segment_align: 8
    .kernarg_segment_size: 280
    .language:       OpenCL C
    .language_version:
      - 2
      - 0
    .max_flat_workgroup_size: 256
    .name:           _ZN7rocprim17ROCPRIM_304000_NS6detail31init_lookback_scan_state_kernelINS1_19lookback_scan_stateIlLb0ELb1EEEEEvT_jjPNS5_10value_typeE
    .private_segment_fixed_size: 0
    .sgpr_count:     20
    .sgpr_spill_count: 0
    .symbol:         _ZN7rocprim17ROCPRIM_304000_NS6detail31init_lookback_scan_state_kernelINS1_19lookback_scan_stateIlLb0ELb1EEEEEvT_jjPNS5_10value_typeE.kd
    .uniform_work_group_size: 1
    .uses_dynamic_stack: false
    .vgpr_count:     10
    .vgpr_spill_count: 0
    .wavefront_size: 64
  - .agpr_count:     0
    .args:
      - .address_space:  global
        .offset:         0
        .size:           8
        .value_kind:     global_buffer
      - .address_space:  global
        .offset:         8
        .size:           8
        .value_kind:     global_buffer
      - .offset:         16
        .size:           8
        .value_kind:     by_value
      - .offset:         24
        .size:           8
        .value_kind:     by_value
      - .offset:         32
        .size:           1
        .value_kind:     by_value
      - .address_space:  global
        .offset:         40
        .size:           8
        .value_kind:     global_buffer
      - .offset:         48
        .size:           4
        .value_kind:     by_value
      - .address_space:  global
        .offset:         56
        .size:           8
        .value_kind:     global_buffer
      - .address_space:  global
        .offset:         64
        .size:           8
        .value_kind:     global_buffer
      - .offset:         72
        .size:           1
        .value_kind:     by_value
      - .offset:         73
        .size:           1
        .value_kind:     by_value
    .group_segment_fixed_size: 0
    .kernarg_segment_align: 8
    .kernarg_segment_size: 76
    .language:       OpenCL C
    .language_version:
      - 2
      - 0
    .max_flat_workgroup_size: 256
    .name:           _ZN7rocprim17ROCPRIM_304000_NS6detail20lookback_scan_kernelILNS1_25lookback_scan_determinismE0ELb0ENS1_19wrapped_scan_configINS0_14default_configElEEPKlPlSt4plusIvEllNS1_19lookback_scan_stateIlLb1ELb1EEEEEvT2_T3_mT5_T4_T7_jPT6_SK_bb
    .private_segment_fixed_size: 0
    .sgpr_count:     6
    .sgpr_spill_count: 0
    .symbol:         _ZN7rocprim17ROCPRIM_304000_NS6detail20lookback_scan_kernelILNS1_25lookback_scan_determinismE0ELb0ENS1_19wrapped_scan_configINS0_14default_configElEEPKlPlSt4plusIvEllNS1_19lookback_scan_stateIlLb1ELb1EEEEEvT2_T3_mT5_T4_T7_jPT6_SK_bb.kd
    .uniform_work_group_size: 1
    .uses_dynamic_stack: false
    .vgpr_count:     0
    .vgpr_spill_count: 0
    .wavefront_size: 64
  - .agpr_count:     0
    .args:
      - .address_space:  global
        .offset:         0
        .size:           8
        .value_kind:     global_buffer
      - .address_space:  global
        .offset:         8
        .size:           8
        .value_kind:     global_buffer
      - .offset:         16
        .size:           8
        .value_kind:     by_value
      - .offset:         24
        .size:           8
        .value_kind:     by_value
      - .offset:         32
        .size:           1
        .value_kind:     by_value
      - .address_space:  global
        .offset:         40
        .size:           8
        .value_kind:     global_buffer
      - .offset:         48
        .size:           4
        .value_kind:     by_value
      - .address_space:  global
        .offset:         56
        .size:           8
        .value_kind:     global_buffer
      - .address_space:  global
        .offset:         64
        .size:           8
        .value_kind:     global_buffer
      - .offset:         72
        .size:           1
        .value_kind:     by_value
      - .offset:         73
        .size:           1
        .value_kind:     by_value
    .group_segment_fixed_size: 12288
    .kernarg_segment_align: 8
    .kernarg_segment_size: 76
    .language:       OpenCL C
    .language_version:
      - 2
      - 0
    .max_flat_workgroup_size: 256
    .name:           _ZN7rocprim17ROCPRIM_304000_NS6detail20lookback_scan_kernelILNS1_25lookback_scan_determinismE0ELb0ENS1_19wrapped_scan_configINS0_14default_configElEEPKlPlSt4plusIvEllNS1_19lookback_scan_stateIlLb0ELb1EEEEEvT2_T3_mT5_T4_T7_jPT6_SK_bb
    .private_segment_fixed_size: 0
    .sgpr_count:     36
    .sgpr_spill_count: 0
    .symbol:         _ZN7rocprim17ROCPRIM_304000_NS6detail20lookback_scan_kernelILNS1_25lookback_scan_determinismE0ELb0ENS1_19wrapped_scan_configINS0_14default_configElEEPKlPlSt4plusIvEllNS1_19lookback_scan_stateIlLb0ELb1EEEEEvT2_T3_mT5_T4_T7_jPT6_SK_bb.kd
    .uniform_work_group_size: 1
    .uses_dynamic_stack: false
    .vgpr_count:     52
    .vgpr_spill_count: 0
    .wavefront_size: 64
  - .agpr_count:     0
    .args:
      - .address_space:  global
        .offset:         0
        .size:           8
        .value_kind:     global_buffer
      - .offset:         8
        .size:           8
        .value_kind:     by_value
      - .address_space:  global
        .offset:         16
        .size:           8
        .value_kind:     global_buffer
      - .offset:         24
        .size:           1
        .value_kind:     by_value
      - .offset:         32
        .size:           4
        .value_kind:     hidden_block_count_x
      - .offset:         36
        .size:           4
        .value_kind:     hidden_block_count_y
      - .offset:         40
        .size:           4
        .value_kind:     hidden_block_count_z
      - .offset:         44
        .size:           2
        .value_kind:     hidden_group_size_x
      - .offset:         46
        .size:           2
        .value_kind:     hidden_group_size_y
      - .offset:         48
        .size:           2
        .value_kind:     hidden_group_size_z
      - .offset:         50
        .size:           2
        .value_kind:     hidden_remainder_x
      - .offset:         52
        .size:           2
        .value_kind:     hidden_remainder_y
      - .offset:         54
        .size:           2
        .value_kind:     hidden_remainder_z
      - .offset:         72
        .size:           8
        .value_kind:     hidden_global_offset_x
      - .offset:         80
        .size:           8
        .value_kind:     hidden_global_offset_y
      - .offset:         88
        .size:           8
        .value_kind:     hidden_global_offset_z
      - .offset:         96
        .size:           2
        .value_kind:     hidden_grid_dims
    .group_segment_fixed_size: 0
    .kernarg_segment_align: 8
    .kernarg_segment_size: 288
    .language:       OpenCL C
    .language_version:
      - 2
      - 0
    .max_flat_workgroup_size: 128
    .name:           _ZN7rocprim17ROCPRIM_304000_NS6detail16transform_kernelINS1_24wrapped_transform_configINS0_14default_configElEElPlS6_NS0_8identityIlEEEEvT1_mT2_T3_
    .private_segment_fixed_size: 0
    .sgpr_count:     16
    .sgpr_spill_count: 0
    .symbol:         _ZN7rocprim17ROCPRIM_304000_NS6detail16transform_kernelINS1_24wrapped_transform_configINS0_14default_configElEElPlS6_NS0_8identityIlEEEEvT1_mT2_T3_.kd
    .uniform_work_group_size: 1
    .uses_dynamic_stack: false
    .vgpr_count:     3
    .vgpr_spill_count: 0
    .wavefront_size: 64
  - .agpr_count:     0
    .args:
      - .address_space:  global
        .offset:         0
        .size:           8
        .value_kind:     global_buffer
      - .offset:         8
        .size:           8
        .value_kind:     by_value
      - .offset:         16
        .size:           8
        .value_kind:     by_value
      - .address_space:  global
        .offset:         24
        .size:           8
        .value_kind:     global_buffer
      - .offset:         32
        .size:           1
        .value_kind:     by_value
    .group_segment_fixed_size: 12288
    .kernarg_segment_align: 8
    .kernarg_segment_size: 36
    .language:       OpenCL C
    .language_version:
      - 2
      - 0
    .max_flat_workgroup_size: 256
    .name:           _ZN7rocprim17ROCPRIM_304000_NS6detail18single_scan_kernelILb0ENS1_19wrapped_scan_configINS0_14default_configElEEPKlPlSt4plusIvEllEEvT1_mT4_T2_T3_
    .private_segment_fixed_size: 0
    .sgpr_count:     26
    .sgpr_spill_count: 0
    .symbol:         _ZN7rocprim17ROCPRIM_304000_NS6detail18single_scan_kernelILb0ENS1_19wrapped_scan_configINS0_14default_configElEEPKlPlSt4plusIvEllEEvT1_mT4_T2_T3_.kd
    .uniform_work_group_size: 1
    .uses_dynamic_stack: false
    .vgpr_count:     25
    .vgpr_spill_count: 0
    .wavefront_size: 64
  - .agpr_count:     0
    .args:
      - .address_space:  global
        .offset:         0
        .size:           8
        .value_kind:     global_buffer
      - .address_space:  global
        .offset:         8
        .size:           8
        .value_kind:     global_buffer
      - .offset:         16
        .size:           8
        .value_kind:     by_value
      - .offset:         24
        .size:           4
        .value_kind:     by_value
      - .offset:         28
        .size:           1
        .value_kind:     by_value
      - .address_space:  global
        .offset:         32
        .size:           8
        .value_kind:     global_buffer
      - .offset:         40
        .size:           4
        .value_kind:     by_value
      - .address_space:  global
        .offset:         48
        .size:           8
        .value_kind:     global_buffer
      - .address_space:  global
        .offset:         56
        .size:           8
        .value_kind:     global_buffer
      - .offset:         64
        .size:           1
        .value_kind:     by_value
      - .offset:         65
        .size:           1
        .value_kind:     by_value
    .group_segment_fixed_size: 0
    .kernarg_segment_align: 8
    .kernarg_segment_size: 68
    .language:       OpenCL C
    .language_version:
      - 2
      - 0
    .max_flat_workgroup_size: 256
    .name:           _ZN7rocprim17ROCPRIM_304000_NS6detail20lookback_scan_kernelILNS1_25lookback_scan_determinismE0ELb0ENS1_19wrapped_scan_configINS0_14default_configEiEEPKiPlSt4plusIvEiiNS1_19lookback_scan_stateIiLb1ELb1EEEEEvT2_T3_mT5_T4_T7_jPT6_SK_bb
    .private_segment_fixed_size: 0
    .sgpr_count:     6
    .sgpr_spill_count: 0
    .symbol:         _ZN7rocprim17ROCPRIM_304000_NS6detail20lookback_scan_kernelILNS1_25lookback_scan_determinismE0ELb0ENS1_19wrapped_scan_configINS0_14default_configEiEEPKiPlSt4plusIvEiiNS1_19lookback_scan_stateIiLb1ELb1EEEEEvT2_T3_mT5_T4_T7_jPT6_SK_bb.kd
    .uniform_work_group_size: 1
    .uses_dynamic_stack: false
    .vgpr_count:     0
    .vgpr_spill_count: 0
    .wavefront_size: 64
  - .agpr_count:     0
    .args:
      - .address_space:  global
        .offset:         0
        .size:           8
        .value_kind:     global_buffer
      - .address_space:  global
        .offset:         8
        .size:           8
        .value_kind:     global_buffer
      - .offset:         16
        .size:           8
        .value_kind:     by_value
      - .offset:         24
        .size:           4
        .value_kind:     by_value
      - .offset:         28
        .size:           1
        .value_kind:     by_value
      - .address_space:  global
        .offset:         32
        .size:           8
        .value_kind:     global_buffer
      - .offset:         40
        .size:           4
        .value_kind:     by_value
      - .address_space:  global
        .offset:         48
        .size:           8
        .value_kind:     global_buffer
      - .address_space:  global
        .offset:         56
        .size:           8
        .value_kind:     global_buffer
      - .offset:         64
        .size:           1
        .value_kind:     by_value
      - .offset:         65
        .size:           1
        .value_kind:     by_value
    .group_segment_fixed_size: 14336
    .kernarg_segment_align: 8
    .kernarg_segment_size: 68
    .language:       OpenCL C
    .language_version:
      - 2
      - 0
    .max_flat_workgroup_size: 256
    .name:           _ZN7rocprim17ROCPRIM_304000_NS6detail20lookback_scan_kernelILNS1_25lookback_scan_determinismE0ELb0ENS1_19wrapped_scan_configINS0_14default_configEiEEPKiPlSt4plusIvEiiNS1_19lookback_scan_stateIiLb0ELb1EEEEEvT2_T3_mT5_T4_T7_jPT6_SK_bb
    .private_segment_fixed_size: 0
    .sgpr_count:     36
    .sgpr_spill_count: 0
    .symbol:         _ZN7rocprim17ROCPRIM_304000_NS6detail20lookback_scan_kernelILNS1_25lookback_scan_determinismE0ELb0ENS1_19wrapped_scan_configINS0_14default_configEiEEPKiPlSt4plusIvEiiNS1_19lookback_scan_stateIiLb0ELb1EEEEEvT2_T3_mT5_T4_T7_jPT6_SK_bb.kd
    .uniform_work_group_size: 1
    .uses_dynamic_stack: false
    .vgpr_count:     50
    .vgpr_spill_count: 0
    .wavefront_size: 64
  - .agpr_count:     0
    .args:
      - .address_space:  global
        .offset:         0
        .size:           8
        .value_kind:     global_buffer
      - .offset:         8
        .size:           8
        .value_kind:     by_value
      - .offset:         16
        .size:           4
        .value_kind:     by_value
      - .address_space:  global
        .offset:         24
        .size:           8
        .value_kind:     global_buffer
      - .offset:         32
        .size:           1
        .value_kind:     by_value
    .group_segment_fixed_size: 14336
    .kernarg_segment_align: 8
    .kernarg_segment_size: 36
    .language:       OpenCL C
    .language_version:
      - 2
      - 0
    .max_flat_workgroup_size: 256
    .name:           _ZN7rocprim17ROCPRIM_304000_NS6detail18single_scan_kernelILb0ENS1_19wrapped_scan_configINS0_14default_configEiEEPKiPlSt4plusIvEiiEEvT1_mT4_T2_T3_
    .private_segment_fixed_size: 0
    .sgpr_count:     38
    .sgpr_spill_count: 0
    .symbol:         _ZN7rocprim17ROCPRIM_304000_NS6detail18single_scan_kernelILb0ENS1_19wrapped_scan_configINS0_14default_configEiEEPKiPlSt4plusIvEiiEEvT1_mT4_T2_T3_.kd
    .uniform_work_group_size: 1
    .uses_dynamic_stack: false
    .vgpr_count:     22
    .vgpr_spill_count: 0
    .wavefront_size: 64
  - .agpr_count:     0
    .args:
      - .address_space:  global
        .offset:         0
        .size:           8
        .value_kind:     global_buffer
      - .address_space:  global
        .offset:         8
        .size:           8
        .value_kind:     global_buffer
      - .offset:         16
        .size:           8
        .value_kind:     by_value
      - .offset:         24
        .size:           4
        .value_kind:     by_value
      - .offset:         28
        .size:           1
        .value_kind:     by_value
      - .address_space:  global
        .offset:         32
        .size:           8
        .value_kind:     global_buffer
      - .offset:         40
        .size:           4
        .value_kind:     by_value
      - .address_space:  global
        .offset:         48
        .size:           8
        .value_kind:     global_buffer
      - .address_space:  global
        .offset:         56
        .size:           8
        .value_kind:     global_buffer
      - .offset:         64
        .size:           1
        .value_kind:     by_value
      - .offset:         65
        .size:           1
        .value_kind:     by_value
    .group_segment_fixed_size: 0
    .kernarg_segment_align: 8
    .kernarg_segment_size: 68
    .language:       OpenCL C
    .language_version:
      - 2
      - 0
    .max_flat_workgroup_size: 256
    .name:           _ZN7rocprim17ROCPRIM_304000_NS6detail20lookback_scan_kernelILNS1_25lookback_scan_determinismE0ELb1ENS1_19wrapped_scan_configINS0_14default_configEiEEPKiPiN2at4cuda3cub12_GLOBAL__N_15SumOpIiEEiiNS1_19lookback_scan_stateIiLb1ELb1EEEEEvT2_T3_mT5_T4_T7_jPT6_SO_bb
    .private_segment_fixed_size: 0
    .sgpr_count:     6
    .sgpr_spill_count: 0
    .symbol:         _ZN7rocprim17ROCPRIM_304000_NS6detail20lookback_scan_kernelILNS1_25lookback_scan_determinismE0ELb1ENS1_19wrapped_scan_configINS0_14default_configEiEEPKiPiN2at4cuda3cub12_GLOBAL__N_15SumOpIiEEiiNS1_19lookback_scan_stateIiLb1ELb1EEEEEvT2_T3_mT5_T4_T7_jPT6_SO_bb.kd
    .uniform_work_group_size: 1
    .uses_dynamic_stack: false
    .vgpr_count:     0
    .vgpr_spill_count: 0
    .wavefront_size: 64
  - .agpr_count:     0
    .args:
      - .address_space:  global
        .offset:         0
        .size:           8
        .value_kind:     global_buffer
      - .address_space:  global
        .offset:         8
        .size:           8
        .value_kind:     global_buffer
      - .offset:         16
        .size:           8
        .value_kind:     by_value
      - .offset:         24
        .size:           4
        .value_kind:     by_value
      - .offset:         28
        .size:           1
        .value_kind:     by_value
      - .address_space:  global
        .offset:         32
        .size:           8
        .value_kind:     global_buffer
      - .offset:         40
        .size:           4
        .value_kind:     by_value
      - .address_space:  global
        .offset:         48
        .size:           8
        .value_kind:     global_buffer
      - .address_space:  global
        .offset:         56
        .size:           8
        .value_kind:     global_buffer
      - .offset:         64
        .size:           1
        .value_kind:     by_value
      - .offset:         65
        .size:           1
        .value_kind:     by_value
    .group_segment_fixed_size: 14336
    .kernarg_segment_align: 8
    .kernarg_segment_size: 68
    .language:       OpenCL C
    .language_version:
      - 2
      - 0
    .max_flat_workgroup_size: 256
    .name:           _ZN7rocprim17ROCPRIM_304000_NS6detail20lookback_scan_kernelILNS1_25lookback_scan_determinismE0ELb1ENS1_19wrapped_scan_configINS0_14default_configEiEEPKiPiN2at4cuda3cub12_GLOBAL__N_15SumOpIiEEiiNS1_19lookback_scan_stateIiLb0ELb1EEEEEvT2_T3_mT5_T4_T7_jPT6_SO_bb
    .private_segment_fixed_size: 0
    .sgpr_count:     38
    .sgpr_spill_count: 0
    .symbol:         _ZN7rocprim17ROCPRIM_304000_NS6detail20lookback_scan_kernelILNS1_25lookback_scan_determinismE0ELb1ENS1_19wrapped_scan_configINS0_14default_configEiEEPKiPiN2at4cuda3cub12_GLOBAL__N_15SumOpIiEEiiNS1_19lookback_scan_stateIiLb0ELb1EEEEEvT2_T3_mT5_T4_T7_jPT6_SO_bb.kd
    .uniform_work_group_size: 1
    .uses_dynamic_stack: false
    .vgpr_count:     47
    .vgpr_spill_count: 0
    .wavefront_size: 64
  - .agpr_count:     0
    .args:
      - .address_space:  global
        .offset:         0
        .size:           8
        .value_kind:     global_buffer
      - .offset:         8
        .size:           8
        .value_kind:     by_value
      - .offset:         16
        .size:           4
        .value_kind:     by_value
      - .address_space:  global
        .offset:         24
        .size:           8
        .value_kind:     global_buffer
      - .offset:         32
        .size:           1
        .value_kind:     by_value
    .group_segment_fixed_size: 14336
    .kernarg_segment_align: 8
    .kernarg_segment_size: 36
    .language:       OpenCL C
    .language_version:
      - 2
      - 0
    .max_flat_workgroup_size: 256
    .name:           _ZN7rocprim17ROCPRIM_304000_NS6detail18single_scan_kernelILb1ENS1_19wrapped_scan_configINS0_14default_configEiEEPKiPiN2at4cuda3cub12_GLOBAL__N_15SumOpIiEEiiEEvT1_mT4_T2_T3_
    .private_segment_fixed_size: 0
    .sgpr_count:     40
    .sgpr_spill_count: 0
    .symbol:         _ZN7rocprim17ROCPRIM_304000_NS6detail18single_scan_kernelILb1ENS1_19wrapped_scan_configINS0_14default_configEiEEPKiPiN2at4cuda3cub12_GLOBAL__N_15SumOpIiEEiiEEvT1_mT4_T2_T3_.kd
    .uniform_work_group_size: 1
    .uses_dynamic_stack: false
    .vgpr_count:     22
    .vgpr_spill_count: 0
    .wavefront_size: 64
  - .agpr_count:     0
    .args:
      - .address_space:  global
        .offset:         0
        .size:           8
        .value_kind:     global_buffer
      - .address_space:  global
        .offset:         8
        .size:           8
        .value_kind:     global_buffer
      - .offset:         16
        .size:           8
        .value_kind:     by_value
      - .offset:         24
        .size:           8
        .value_kind:     by_value
      - .offset:         32
        .size:           1
        .value_kind:     by_value
      - .address_space:  global
        .offset:         40
        .size:           8
        .value_kind:     global_buffer
      - .offset:         48
        .size:           4
        .value_kind:     by_value
      - .address_space:  global
        .offset:         56
        .size:           8
        .value_kind:     global_buffer
      - .address_space:  global
        .offset:         64
        .size:           8
        .value_kind:     global_buffer
      - .offset:         72
        .size:           1
        .value_kind:     by_value
      - .offset:         73
        .size:           1
        .value_kind:     by_value
    .group_segment_fixed_size: 0
    .kernarg_segment_align: 8
    .kernarg_segment_size: 76
    .language:       OpenCL C
    .language_version:
      - 2
      - 0
    .max_flat_workgroup_size: 256
    .name:           _ZN7rocprim17ROCPRIM_304000_NS6detail20lookback_scan_kernelILNS1_25lookback_scan_determinismE0ELb1ENS1_19wrapped_scan_configINS0_14default_configElEEPKlPlN2at4cuda3cub12_GLOBAL__N_15SumOpIlEEllNS1_19lookback_scan_stateIlLb1ELb1EEEEEvT2_T3_mT5_T4_T7_jPT6_SO_bb
    .private_segment_fixed_size: 0
    .sgpr_count:     6
    .sgpr_spill_count: 0
    .symbol:         _ZN7rocprim17ROCPRIM_304000_NS6detail20lookback_scan_kernelILNS1_25lookback_scan_determinismE0ELb1ENS1_19wrapped_scan_configINS0_14default_configElEEPKlPlN2at4cuda3cub12_GLOBAL__N_15SumOpIlEEllNS1_19lookback_scan_stateIlLb1ELb1EEEEEvT2_T3_mT5_T4_T7_jPT6_SO_bb.kd
    .uniform_work_group_size: 1
    .uses_dynamic_stack: false
    .vgpr_count:     0
    .vgpr_spill_count: 0
    .wavefront_size: 64
  - .agpr_count:     0
    .args:
      - .address_space:  global
        .offset:         0
        .size:           8
        .value_kind:     global_buffer
      - .address_space:  global
        .offset:         8
        .size:           8
        .value_kind:     global_buffer
      - .offset:         16
        .size:           8
        .value_kind:     by_value
      - .offset:         24
        .size:           8
        .value_kind:     by_value
      - .offset:         32
        .size:           1
        .value_kind:     by_value
      - .address_space:  global
        .offset:         40
        .size:           8
        .value_kind:     global_buffer
      - .offset:         48
        .size:           4
        .value_kind:     by_value
      - .address_space:  global
        .offset:         56
        .size:           8
        .value_kind:     global_buffer
      - .address_space:  global
        .offset:         64
        .size:           8
        .value_kind:     global_buffer
      - .offset:         72
        .size:           1
        .value_kind:     by_value
      - .offset:         73
        .size:           1
        .value_kind:     by_value
    .group_segment_fixed_size: 12288
    .kernarg_segment_align: 8
    .kernarg_segment_size: 76
    .language:       OpenCL C
    .language_version:
      - 2
      - 0
    .max_flat_workgroup_size: 256
    .name:           _ZN7rocprim17ROCPRIM_304000_NS6detail20lookback_scan_kernelILNS1_25lookback_scan_determinismE0ELb1ENS1_19wrapped_scan_configINS0_14default_configElEEPKlPlN2at4cuda3cub12_GLOBAL__N_15SumOpIlEEllNS1_19lookback_scan_stateIlLb0ELb1EEEEEvT2_T3_mT5_T4_T7_jPT6_SO_bb
    .private_segment_fixed_size: 0
    .sgpr_count:     38
    .sgpr_spill_count: 0
    .symbol:         _ZN7rocprim17ROCPRIM_304000_NS6detail20lookback_scan_kernelILNS1_25lookback_scan_determinismE0ELb1ENS1_19wrapped_scan_configINS0_14default_configElEEPKlPlN2at4cuda3cub12_GLOBAL__N_15SumOpIlEEllNS1_19lookback_scan_stateIlLb0ELb1EEEEEvT2_T3_mT5_T4_T7_jPT6_SO_bb.kd
    .uniform_work_group_size: 1
    .uses_dynamic_stack: false
    .vgpr_count:     54
    .vgpr_spill_count: 0
    .wavefront_size: 64
  - .agpr_count:     0
    .args:
      - .address_space:  global
        .offset:         0
        .size:           8
        .value_kind:     global_buffer
      - .offset:         8
        .size:           8
        .value_kind:     by_value
      - .offset:         16
        .size:           8
        .value_kind:     by_value
      - .address_space:  global
        .offset:         24
        .size:           8
        .value_kind:     global_buffer
      - .offset:         32
        .size:           1
        .value_kind:     by_value
    .group_segment_fixed_size: 12288
    .kernarg_segment_align: 8
    .kernarg_segment_size: 36
    .language:       OpenCL C
    .language_version:
      - 2
      - 0
    .max_flat_workgroup_size: 256
    .name:           _ZN7rocprim17ROCPRIM_304000_NS6detail18single_scan_kernelILb1ENS1_19wrapped_scan_configINS0_14default_configElEEPKlPlN2at4cuda3cub12_GLOBAL__N_15SumOpIlEEllEEvT1_mT4_T2_T3_
    .private_segment_fixed_size: 0
    .sgpr_count:     30
    .sgpr_spill_count: 0
    .symbol:         _ZN7rocprim17ROCPRIM_304000_NS6detail18single_scan_kernelILb1ENS1_19wrapped_scan_configINS0_14default_configElEEPKlPlN2at4cuda3cub12_GLOBAL__N_15SumOpIlEEllEEvT1_mT4_T2_T3_.kd
    .uniform_work_group_size: 1
    .uses_dynamic_stack: false
    .vgpr_count:     24
    .vgpr_spill_count: 0
    .wavefront_size: 64
  - .agpr_count:     0
    .args:
      - .offset:         0
        .size:           16
        .value_kind:     by_value
      - .address_space:  global
        .offset:         16
        .size:           8
        .value_kind:     global_buffer
      - .offset:         24
        .size:           8
        .value_kind:     by_value
      - .offset:         32
        .size:           8
        .value_kind:     by_value
      - .offset:         40
        .size:           1
        .value_kind:     by_value
      - .address_space:  global
        .offset:         48
        .size:           8
        .value_kind:     global_buffer
      - .offset:         56
        .size:           4
        .value_kind:     by_value
      - .address_space:  global
        .offset:         64
        .size:           8
        .value_kind:     global_buffer
      - .address_space:  global
        .offset:         72
        .size:           8
        .value_kind:     global_buffer
      - .offset:         80
        .size:           1
        .value_kind:     by_value
      - .offset:         81
        .size:           1
        .value_kind:     by_value
    .group_segment_fixed_size: 0
    .kernarg_segment_align: 8
    .kernarg_segment_size: 84
    .language:       OpenCL C
    .language_version:
      - 2
      - 0
    .max_flat_workgroup_size: 256
    .name:           _ZN7rocprim17ROCPRIM_304000_NS6detail20lookback_scan_kernelILNS1_25lookback_scan_determinismE0ELb1ENS1_19wrapped_scan_configINS0_14default_configElEEN6hipcub22TransformInputIteratorIbN2at4cuda3cub12_GLOBAL__N_111CountMaskOpEPKhlEEPlNSC_5SumOpIlEEllNS1_19lookback_scan_stateIlLb1ELb1EEEEEvT2_T3_mT5_T4_T7_jPT6_SS_bb
    .private_segment_fixed_size: 0
    .sgpr_count:     6
    .sgpr_spill_count: 0
    .symbol:         _ZN7rocprim17ROCPRIM_304000_NS6detail20lookback_scan_kernelILNS1_25lookback_scan_determinismE0ELb1ENS1_19wrapped_scan_configINS0_14default_configElEEN6hipcub22TransformInputIteratorIbN2at4cuda3cub12_GLOBAL__N_111CountMaskOpEPKhlEEPlNSC_5SumOpIlEEllNS1_19lookback_scan_stateIlLb1ELb1EEEEEvT2_T3_mT5_T4_T7_jPT6_SS_bb.kd
    .uniform_work_group_size: 1
    .uses_dynamic_stack: false
    .vgpr_count:     0
    .vgpr_spill_count: 0
    .wavefront_size: 64
  - .agpr_count:     0
    .args:
      - .offset:         0
        .size:           16
        .value_kind:     by_value
      - .address_space:  global
        .offset:         16
        .size:           8
        .value_kind:     global_buffer
      - .offset:         24
        .size:           8
        .value_kind:     by_value
      - .offset:         32
        .size:           8
        .value_kind:     by_value
      - .offset:         40
        .size:           1
        .value_kind:     by_value
      - .address_space:  global
        .offset:         48
        .size:           8
        .value_kind:     global_buffer
      - .offset:         56
        .size:           4
        .value_kind:     by_value
      - .address_space:  global
        .offset:         64
        .size:           8
        .value_kind:     global_buffer
      - .address_space:  global
        .offset:         72
        .size:           8
        .value_kind:     global_buffer
      - .offset:         80
        .size:           1
        .value_kind:     by_value
      - .offset:         81
        .size:           1
        .value_kind:     by_value
    .group_segment_fixed_size: 12288
    .kernarg_segment_align: 8
    .kernarg_segment_size: 84
    .language:       OpenCL C
    .language_version:
      - 2
      - 0
    .max_flat_workgroup_size: 256
    .name:           _ZN7rocprim17ROCPRIM_304000_NS6detail20lookback_scan_kernelILNS1_25lookback_scan_determinismE0ELb1ENS1_19wrapped_scan_configINS0_14default_configElEEN6hipcub22TransformInputIteratorIbN2at4cuda3cub12_GLOBAL__N_111CountMaskOpEPKhlEEPlNSC_5SumOpIlEEllNS1_19lookback_scan_stateIlLb0ELb1EEEEEvT2_T3_mT5_T4_T7_jPT6_SS_bb
    .private_segment_fixed_size: 0
    .sgpr_count:     34
    .sgpr_spill_count: 0
    .symbol:         _ZN7rocprim17ROCPRIM_304000_NS6detail20lookback_scan_kernelILNS1_25lookback_scan_determinismE0ELb1ENS1_19wrapped_scan_configINS0_14default_configElEEN6hipcub22TransformInputIteratorIbN2at4cuda3cub12_GLOBAL__N_111CountMaskOpEPKhlEEPlNSC_5SumOpIlEEllNS1_19lookback_scan_stateIlLb0ELb1EEEEEvT2_T3_mT5_T4_T7_jPT6_SS_bb.kd
    .uniform_work_group_size: 1
    .uses_dynamic_stack: false
    .vgpr_count:     54
    .vgpr_spill_count: 0
    .wavefront_size: 64
  - .agpr_count:     0
    .args:
      - .offset:         0
        .size:           16
        .value_kind:     by_value
      - .offset:         16
        .size:           8
        .value_kind:     by_value
      - .offset:         24
        .size:           8
        .value_kind:     by_value
      - .address_space:  global
        .offset:         32
        .size:           8
        .value_kind:     global_buffer
      - .offset:         40
        .size:           1
        .value_kind:     by_value
    .group_segment_fixed_size: 12288
    .kernarg_segment_align: 8
    .kernarg_segment_size: 44
    .language:       OpenCL C
    .language_version:
      - 2
      - 0
    .max_flat_workgroup_size: 256
    .name:           _ZN7rocprim17ROCPRIM_304000_NS6detail18single_scan_kernelILb1ENS1_19wrapped_scan_configINS0_14default_configElEEN6hipcub22TransformInputIteratorIbN2at4cuda3cub12_GLOBAL__N_111CountMaskOpEPKhlEEPlNSB_5SumOpIlEEllEEvT1_mT4_T2_T3_
    .private_segment_fixed_size: 0
    .sgpr_count:     28
    .sgpr_spill_count: 0
    .symbol:         _ZN7rocprim17ROCPRIM_304000_NS6detail18single_scan_kernelILb1ENS1_19wrapped_scan_configINS0_14default_configElEEN6hipcub22TransformInputIteratorIbN2at4cuda3cub12_GLOBAL__N_111CountMaskOpEPKhlEEPlNSB_5SumOpIlEEllEEvT1_mT4_T2_T3_.kd
    .uniform_work_group_size: 1
    .uses_dynamic_stack: false
    .vgpr_count:     23
    .vgpr_spill_count: 0
    .wavefront_size: 64
amdhsa.target:   amdgcn-amd-amdhsa--gfx950
amdhsa.version:
  - 1
  - 2
...

	.end_amdgpu_metadata
